;; amdgpu-corpus repo=ROCm/rocFFT kind=compiled arch=gfx950 opt=O3
	.text
	.amdgcn_target "amdgcn-amd-amdhsa--gfx950"
	.amdhsa_code_object_version 6
	.protected	bluestein_single_back_len1190_dim1_sp_op_CI_CI ; -- Begin function bluestein_single_back_len1190_dim1_sp_op_CI_CI
	.globl	bluestein_single_back_len1190_dim1_sp_op_CI_CI
	.p2align	8
	.type	bluestein_single_back_len1190_dim1_sp_op_CI_CI,@function
bluestein_single_back_len1190_dim1_sp_op_CI_CI: ; @bluestein_single_back_len1190_dim1_sp_op_CI_CI
; %bb.0:
	s_load_dwordx4 s[4:7], s[0:1], 0x28
	v_mul_u32_u24_e32 v1, 0x304, v0
	v_lshrrev_b32_e32 v2, 16, v1
	v_mad_u64_u32 v[214:215], s[2:3], s2, 3, v[2:3]
	v_mov_b32_e32 v83, 0
	v_mov_b32_e32 v215, v83
	s_waitcnt lgkmcnt(0)
	v_cmp_gt_u64_e32 vcc, s[4:5], v[214:215]
	s_and_saveexec_b64 s[2:3], vcc
	s_cbranch_execz .LBB0_23
; %bb.1:
	v_mul_lo_u16_e32 v1, 0x55, v2
	s_mov_b32 s2, 0xaaaaaaab
	v_sub_u16_e32 v82, v0, v1
	v_mul_hi_u32 v0, v214, s2
	s_load_dwordx2 s[12:13], s[0:1], 0x0
	s_load_dwordx2 s[14:15], s[0:1], 0x38
	v_lshrrev_b32_e32 v0, 1, v0
	v_lshl_add_u32 v0, v0, 1, v0
	v_sub_u32_e32 v0, v214, v0
	v_mul_u32_u24_e32 v178, 0x4a6, v0
	s_movk_i32 s2, 0x46
	v_cmp_gt_u16_e64 s[4:5], s2, v82
	v_lshlrev_b32_e32 v212, 3, v82
	v_lshlrev_b32_e32 v179, 3, v178
	s_and_saveexec_b64 s[2:3], s[4:5]
	s_cbranch_execz .LBB0_3
; %bb.2:
	s_load_dwordx2 s[8:9], s[0:1], 0x18
	v_mov_b32_e32 v0, s6
	v_mov_b32_e32 v1, s7
	;; [unrolled: 1-line block ×4, first 2 shown]
	s_waitcnt lgkmcnt(0)
	s_load_dwordx4 s[8:11], s[8:9], 0x0
	s_waitcnt lgkmcnt(0)
	v_mad_u64_u32 v[2:3], s[6:7], s10, v214, 0
	v_mad_u64_u32 v[4:5], s[6:7], s8, v82, 0
	v_mov_b32_e32 v6, v3
	v_mov_b32_e32 v8, v5
	v_mad_u64_u32 v[6:7], s[6:7], s11, v214, v[6:7]
	v_mov_b32_e32 v3, v6
	v_mad_u64_u32 v[6:7], s[6:7], s9, v82, v[8:9]
	v_mov_b32_e32 v5, v6
	v_lshl_add_u64 v[0:1], v[2:3], 3, v[0:1]
	v_lshl_add_u64 v[2:3], v[4:5], 3, v[0:1]
	global_load_dwordx2 v[0:1], v[2:3], off
	v_mad_u64_u32 v[2:3], s[6:7], s8, v68, v[2:3]
	s_mul_i32 s6, s9, 0x230
	s_nop 0
	v_add_u32_e32 v3, s6, v3
	v_mad_u64_u32 v[6:7], s[10:11], s8, v68, v[2:3]
	v_add_u32_e32 v7, s6, v7
	v_mad_u64_u32 v[14:15], s[10:11], s8, v68, v[6:7]
	v_add_u32_e32 v15, s6, v15
	v_mad_u64_u32 v[16:17], s[10:11], s8, v68, v[14:15]
	v_add_u32_e32 v17, s6, v17
	global_load_dwordx2 v[8:9], v212, s[12:13]
	global_load_dwordx2 v[10:11], v212, s[12:13] offset:560
	global_load_dwordx2 v[12:13], v212, s[12:13] offset:1120
	global_load_dwordx2 v[18:19], v[2:3], off
	global_load_dwordx2 v[20:21], v[6:7], off
	global_load_dwordx2 v[22:23], v[14:15], off
	global_load_dwordx2 v[24:25], v[16:17], off
	v_mad_u64_u32 v[2:3], s[10:11], s8, v68, v[16:17]
	v_add_u32_e32 v3, s6, v3
	global_load_dwordx2 v[6:7], v[2:3], off
	v_mad_u64_u32 v[2:3], s[10:11], s8, v68, v[2:3]
	v_add_u32_e32 v3, s6, v3
	global_load_dwordx2 v[14:15], v[2:3], off
	global_load_dwordx2 v[16:17], v212, s[12:13] offset:1680
	global_load_dwordx2 v[26:27], v212, s[12:13] offset:2240
	;; [unrolled: 1-line block ×4, first 2 shown]
	v_mad_u64_u32 v[2:3], s[10:11], s8, v68, v[2:3]
	v_add_u32_e32 v3, s6, v3
	global_load_dwordx2 v[32:33], v[2:3], off
	global_load_dwordx2 v[34:35], v212, s[12:13] offset:3920
	v_mad_u64_u32 v[2:3], s[10:11], s8, v68, v[2:3]
	v_add_u32_e32 v3, s6, v3
	global_load_dwordx2 v[36:37], v[2:3], off
	v_mad_u64_u32 v[2:3], s[10:11], s8, v68, v[2:3]
	v_add_u32_e32 v3, s6, v3
	global_load_dwordx2 v[40:41], v[2:3], off
	v_mad_u64_u32 v[2:3], s[10:11], s8, v68, v[2:3]
	v_lshl_add_u64 v[4:5], s[12:13], 0, v[212:213]
	s_movk_i32 s7, 0x1000
	v_add_u32_e32 v3, s6, v3
	v_add_co_u32_e32 v38, vcc, s7, v4
	global_load_dwordx2 v[44:45], v[2:3], off
	v_mad_u64_u32 v[2:3], s[10:11], s8, v68, v[2:3]
	v_addc_co_u32_e32 v39, vcc, 0, v5, vcc
	v_add_u32_e32 v3, s6, v3
	global_load_dwordx2 v[42:43], v[38:39], off offset:384
	global_load_dwordx2 v[46:47], v[38:39], off offset:944
	global_load_dwordx2 v[48:49], v[2:3], off
	global_load_dwordx2 v[50:51], v[38:39], off offset:1504
	global_load_dwordx2 v[52:53], v[38:39], off offset:2064
	v_mad_u64_u32 v[2:3], s[10:11], s8, v68, v[2:3]
	v_add_u32_e32 v3, s6, v3
	global_load_dwordx2 v[54:55], v[2:3], off
	v_mad_u64_u32 v[2:3], s[10:11], s8, v68, v[2:3]
	v_add_u32_e32 v3, s6, v3
	global_load_dwordx2 v[56:57], v[2:3], off
	v_mad_u64_u32 v[2:3], s[10:11], s8, v68, v[2:3]
	v_add_u32_e32 v3, s6, v3
	global_load_dwordx2 v[58:59], v[38:39], off offset:2624
	global_load_dwordx2 v[60:61], v[2:3], off
	global_load_dwordx2 v[62:63], v[38:39], off offset:3184
	global_load_dwordx2 v[64:65], v[38:39], off offset:3744
	v_mad_u64_u32 v[2:3], s[10:11], s8, v68, v[2:3]
	v_add_u32_e32 v3, s6, v3
	s_movk_i32 s7, 0x2000
	global_load_dwordx2 v[38:39], v[2:3], off
	v_add_co_u32_e32 v4, vcc, s7, v4
	v_mad_u64_u32 v[2:3], s[8:9], s8, v68, v[2:3]
	s_nop 0
	v_addc_co_u32_e32 v5, vcc, 0, v5, vcc
	v_add_u32_e32 v3, s6, v3
	global_load_dwordx2 v[66:67], v[4:5], off offset:208
	global_load_dwordx2 v[68:69], v[2:3], off
	global_load_dwordx2 v[70:71], v[4:5], off offset:768
	v_lshl_add_u32 v4, v82, 3, v179
	s_waitcnt vmcnt(32)
	v_mul_f32_e32 v2, v1, v9
	v_fmac_f32_e32 v2, v0, v8
	v_mul_f32_e32 v0, v0, v9
	v_fma_f32 v3, v1, v8, -v0
	ds_write_b64 v4, v[2:3]
	s_waitcnt vmcnt(29)
	v_mul_f32_e32 v0, v19, v11
	v_mul_f32_e32 v1, v18, v11
	s_waitcnt vmcnt(28)
	v_mul_f32_e32 v2, v21, v13
	v_mul_f32_e32 v3, v20, v13
	v_fmac_f32_e32 v0, v18, v10
	v_add_u32_e32 v4, v179, v212
	v_fma_f32 v1, v19, v10, -v1
	v_fmac_f32_e32 v2, v20, v12
	v_fma_f32 v3, v21, v12, -v3
	ds_write2_b64 v4, v[0:1], v[2:3] offset0:70 offset1:140
	s_waitcnt vmcnt(23)
	v_mul_f32_e32 v0, v23, v17
	v_mul_f32_e32 v1, v22, v17
	s_waitcnt vmcnt(22)
	v_mul_f32_e32 v2, v25, v27
	v_mul_f32_e32 v3, v24, v27
	v_fmac_f32_e32 v0, v22, v16
	v_fma_f32 v1, v23, v16, -v1
	v_fmac_f32_e32 v2, v24, v26
	v_fma_f32 v3, v25, v26, -v3
	v_add_u32_e32 v5, 0x400, v4
	ds_write2_b64 v5, v[0:1], v[2:3] offset0:82 offset1:152
	s_waitcnt vmcnt(21)
	v_mul_f32_e32 v0, v7, v29
	v_mul_f32_e32 v1, v6, v29
	s_waitcnt vmcnt(20)
	v_mul_f32_e32 v2, v15, v31
	v_mul_f32_e32 v3, v14, v31
	v_fmac_f32_e32 v0, v6, v28
	v_fma_f32 v1, v7, v28, -v1
	v_fmac_f32_e32 v2, v14, v30
	v_fma_f32 v3, v15, v30, -v3
	v_add_u32_e32 v5, 0x800, v4
	ds_write2_b64 v5, v[0:1], v[2:3] offset0:94 offset1:164
	s_waitcnt vmcnt(18)
	v_mul_f32_e32 v0, v33, v35
	v_mul_f32_e32 v1, v32, v35
	s_waitcnt vmcnt(14)
	v_mul_f32_e32 v2, v37, v43
	v_mul_f32_e32 v3, v36, v43
	v_fmac_f32_e32 v0, v32, v34
	v_fma_f32 v1, v33, v34, -v1
	v_fmac_f32_e32 v2, v36, v42
	v_fma_f32 v3, v37, v42, -v3
	v_add_u32_e32 v5, 0xc00, v4
	ds_write2_b64 v5, v[0:1], v[2:3] offset0:106 offset1:176
	s_waitcnt vmcnt(13)
	v_mul_f32_e32 v0, v41, v47
	v_mul_f32_e32 v1, v40, v47
	s_waitcnt vmcnt(11)
	v_mul_f32_e32 v2, v45, v51
	v_mul_f32_e32 v3, v44, v51
	v_fmac_f32_e32 v0, v40, v46
	v_fma_f32 v1, v41, v46, -v1
	v_fmac_f32_e32 v2, v44, v50
	v_fma_f32 v3, v45, v50, -v3
	v_add_u32_e32 v5, 0x1000, v4
	ds_write2_b64 v5, v[0:1], v[2:3] offset0:118 offset1:188
	s_waitcnt vmcnt(10)
	v_mul_f32_e32 v0, v49, v53
	v_mul_f32_e32 v1, v48, v53
	s_waitcnt vmcnt(7)
	v_mul_f32_e32 v2, v55, v59
	v_mul_f32_e32 v3, v54, v59
	v_fmac_f32_e32 v0, v48, v52
	v_fma_f32 v1, v49, v52, -v1
	v_fmac_f32_e32 v2, v54, v58
	v_fma_f32 v3, v55, v58, -v3
	v_add_u32_e32 v5, 0x1800, v4
	ds_write2_b64 v5, v[0:1], v[2:3] offset0:2 offset1:72
	s_waitcnt vmcnt(5)
	v_mul_f32_e32 v0, v57, v63
	v_mul_f32_e32 v1, v56, v63
	s_waitcnt vmcnt(4)
	v_mul_f32_e32 v2, v61, v65
	v_mul_f32_e32 v3, v60, v65
	v_fmac_f32_e32 v0, v56, v62
	v_fma_f32 v1, v57, v62, -v1
	v_fmac_f32_e32 v2, v60, v64
	v_fma_f32 v3, v61, v64, -v3
	ds_write2_b64 v5, v[0:1], v[2:3] offset0:142 offset1:212
	s_waitcnt vmcnt(2)
	v_mul_f32_e32 v0, v39, v67
	v_mul_f32_e32 v1, v38, v67
	s_waitcnt vmcnt(0)
	v_mul_f32_e32 v2, v69, v71
	v_mul_f32_e32 v3, v68, v71
	v_fmac_f32_e32 v0, v38, v66
	v_fma_f32 v1, v39, v66, -v1
	v_fmac_f32_e32 v2, v68, v70
	v_fma_f32 v3, v69, v70, -v3
	v_add_u32_e32 v4, 0x2000, v4
	ds_write2_b64 v4, v[0:1], v[2:3] offset0:26 offset1:96
.LBB0_3:
	s_or_b64 exec, exec, s[2:3]
	s_load_dwordx2 s[2:3], s[0:1], 0x20
	s_load_dwordx2 s[6:7], s[0:1], 0x8
	v_mov_b32_e32 v0, 0
	v_mov_b32_e32 v1, 0
	s_waitcnt lgkmcnt(0)
	s_barrier
	s_waitcnt lgkmcnt(0)
                                        ; implicit-def: $vgpr6
                                        ; implicit-def: $vgpr12
                                        ; implicit-def: $vgpr10
                                        ; implicit-def: $vgpr20
                                        ; implicit-def: $vgpr18
                                        ; implicit-def: $vgpr30
                                        ; implicit-def: $vgpr32
                                        ; implicit-def: $vgpr60
	s_and_saveexec_b64 s[0:1], s[4:5]
	s_cbranch_execz .LBB0_5
; %bb.4:
	v_lshl_add_u32 v24, v178, 3, v212
	v_add_u32_e32 v4, 0x800, v24
	ds_read2_b64 v[0:3], v24 offset1:70
	ds_read2_b64 v[32:35], v24 offset0:140 offset1:210
	ds_read2_b64 v[16:19], v4 offset0:24 offset1:94
	;; [unrolled: 1-line block ×3, first 2 shown]
	v_add_u32_e32 v4, 0x1000, v24
	v_add_u32_e32 v12, 0x1400, v24
	;; [unrolled: 1-line block ×4, first 2 shown]
	ds_read2_b64 v[4:7], v4 offset0:48 offset1:118
	ds_read2_b64 v[12:15], v12 offset0:60 offset1:130
	;; [unrolled: 1-line block ×4, first 2 shown]
	ds_read_b64 v[60:61], v24 offset:8960
.LBB0_5:
	s_or_b64 exec, exec, s[0:1]
	s_waitcnt lgkmcnt(0)
	v_pk_add_f32 v[46:47], v[2:3], v[60:61] neg_lo:[0,1] neg_hi:[0,1]
	s_mov_b32 s24, 0xbeb8f4ab
	v_pk_add_f32 v[36:37], v[60:61], v[2:3]
	s_mov_b32 s10, 0x3f6eb680
	v_pk_mul_f32 v[24:25], v[46:47], s[24:25] op_sel_hi:[1,0]
	s_mov_b32 s44, 0xbf2c7751
	v_pk_fma_f32 v[74:75], v[36:37], s[10:11], v[24:25] op_sel:[0,0,1] op_sel_hi:[1,0,0]
	v_pk_fma_f32 v[72:73], v[36:37], s[10:11], v[24:25] op_sel:[0,0,1] op_sel_hi:[1,0,0] neg_lo:[0,0,1] neg_hi:[0,0,1]
	v_pk_add_f32 v[44:45], v[32:33], v[30:31] neg_lo:[0,1] neg_hi:[0,1]
	s_mov_b32 s8, 0x3f3d2fb0
	v_pk_mul_f32 v[24:25], v[46:47], s[44:45] op_sel_hi:[1,0]
	s_mov_b32 s36, 0xbf7ee86f
	v_pk_add_f32 v[40:41], v[30:31], v[32:33]
	v_pk_fma_f32 v[76:77], v[36:37], s[8:9], v[24:25] op_sel:[0,0,1] op_sel_hi:[1,0,0]
	v_pk_fma_f32 v[68:69], v[36:37], s[8:9], v[24:25] op_sel:[0,0,1] op_sel_hi:[1,0,0] neg_lo:[0,0,1] neg_hi:[0,0,1]
	s_mov_b32 s0, 0x3dbcf732
	v_pk_mul_f32 v[24:25], v[44:45], s[36:37] op_sel_hi:[1,0]
	v_pk_mul_f32 v[52:53], v[44:45], s[44:45] op_sel_hi:[1,0]
	v_pk_fma_f32 v[88:89], v[40:41], s[0:1], v[24:25] op_sel:[0,0,1] op_sel_hi:[1,0,0]
	v_pk_fma_f32 v[70:71], v[40:41], s[0:1], v[24:25] op_sel:[0,0,1] op_sel_hi:[1,0,0] neg_lo:[0,0,1] neg_hi:[0,0,1]
	v_mov_b32_e32 v24, v74
	v_mov_b32_e32 v25, v73
	v_pk_fma_f32 v[90:91], v[40:41], s[8:9], v[52:53] op_sel:[0,0,1] op_sel_hi:[1,0,0]
	v_pk_fma_f32 v[92:93], v[40:41], s[8:9], v[52:53] op_sel:[0,0,1] op_sel_hi:[1,0,0] neg_lo:[0,0,1] neg_hi:[0,0,1]
	v_pk_add_f32 v[24:25], v[24:25], v[0:1]
	v_mov_b32_e32 v26, v76
	v_mov_b32_e32 v27, v69
	;; [unrolled: 1-line block ×4, first 2 shown]
	v_pk_add_f32 v[50:51], v[34:35], v[28:29] neg_lo:[0,1] neg_hi:[0,1]
	v_pk_add_f32 v[26:27], v[26:27], v[0:1]
	v_pk_add_f32 v[24:25], v[52:53], v[24:25]
	v_mov_b32_e32 v52, v88
	v_mov_b32_e32 v53, v71
	s_mov_b32 s50, 0xbf65296c
	v_pk_add_f32 v[48:49], v[28:29], v[34:35]
	v_pk_add_f32 v[26:27], v[52:53], v[26:27]
	s_mov_b32 s16, 0x3ee437d1
	v_pk_mul_f32 v[52:53], v[50:51], s[50:51] op_sel_hi:[1,0]
	s_mov_b32 s20, 0xbf4c4adb
	v_pk_fma_f32 v[98:99], v[48:49], s[16:17], v[52:53] op_sel:[0,0,1] op_sel_hi:[1,0,0]
	v_pk_fma_f32 v[100:101], v[48:49], s[16:17], v[52:53] op_sel:[0,0,1] op_sel_hi:[1,0,0] neg_lo:[0,0,1] neg_hi:[0,0,1]
	v_mov_b32_e32 v52, v98
	v_mov_b32_e32 v53, v101
	v_pk_add_f32 v[24:25], v[52:53], v[24:25]
	s_mov_b32 s18, 0xbf1a4643
	v_pk_mul_f32 v[52:53], v[50:51], s[20:21] op_sel_hi:[1,0]
	v_pk_add_f32 v[62:63], v[16:17], v[22:23] neg_lo:[0,1] neg_hi:[0,1]
	v_pk_fma_f32 v[78:79], v[48:49], s[18:19], v[52:53] op_sel:[0,0,1] op_sel_hi:[1,0,0]
	v_pk_fma_f32 v[86:87], v[48:49], s[18:19], v[52:53] op_sel:[0,0,1] op_sel_hi:[1,0,0] neg_lo:[0,0,1] neg_hi:[0,0,1]
	v_mov_b32_e32 v52, v78
	v_mov_b32_e32 v53, v87
	v_pk_add_f32 v[42:43], v[22:23], v[16:17]
	v_pk_add_f32 v[26:27], v[52:53], v[26:27]
	v_pk_mul_f32 v[52:53], v[62:63], s[36:37] op_sel:[1,0] op_sel_hi:[0,0]
	v_pk_fma_f32 v[102:103], v[42:43], s[0:1], v[52:53] op_sel_hi:[1,0,1]
	v_pk_fma_f32 v[104:105], v[42:43], s[0:1], v[52:53] op_sel_hi:[1,0,1] neg_lo:[0,0,1] neg_hi:[0,0,1]
	v_mov_b32_e32 v52, v102
	v_mov_b32_e32 v53, v105
	s_mov_b32 s38, 0xbe3c28d5
	v_pk_add_f32 v[24:25], v[52:53], v[24:25]
	s_mov_b32 s30, 0xbf7ba420
	v_pk_mul_f32 v[52:53], v[62:63], s[38:39] op_sel:[1,0] op_sel_hi:[0,0]
	v_pk_fma_f32 v[94:95], v[42:43], s[30:31], v[52:53] op_sel_hi:[1,0,1]
	v_pk_fma_f32 v[96:97], v[42:43], s[30:31], v[52:53] op_sel_hi:[1,0,1] neg_lo:[0,0,1] neg_hi:[0,0,1]
	v_mov_b32_e32 v52, v94
	v_mov_b32_e32 v53, v97
	v_pk_add_f32 v[142:143], v[18:19], v[20:21] neg_lo:[0,1] neg_hi:[0,1]
	s_mov_b32 s28, 0xbf763a35
	v_pk_add_f32 v[38:39], v[20:21], v[18:19]
	v_pk_add_f32 v[26:27], v[52:53], v[26:27]
	s_mov_b32 s26, 0xbe8c1d8e
	v_pk_mul_f32 v[52:53], v[142:143], s[28:29] op_sel:[1,0] op_sel_hi:[0,0]
	v_pk_fma_f32 v[114:115], v[38:39], s[26:27], v[52:53] op_sel_hi:[1,0,1]
	v_pk_fma_f32 v[116:117], v[38:39], s[26:27], v[52:53] op_sel_hi:[1,0,1] neg_lo:[0,0,1] neg_hi:[0,0,1]
	v_mov_b32_e32 v52, v114
	v_mov_b32_e32 v53, v117
	s_mov_b32 s54, 0x3f06c442
	v_pk_add_f32 v[24:25], v[52:53], v[24:25]
	s_mov_b32 s34, 0xbf59a7d5
	v_pk_mul_f32 v[52:53], v[142:143], s[54:55] op_sel:[1,0] op_sel_hi:[0,0]
	v_pk_fma_f32 v[106:107], v[38:39], s[34:35], v[52:53] op_sel_hi:[1,0,1]
	v_pk_fma_f32 v[108:109], v[38:39], s[34:35], v[52:53] op_sel_hi:[1,0,1] neg_lo:[0,0,1] neg_hi:[0,0,1]
	v_mov_b32_e32 v52, v106
	v_mov_b32_e32 v53, v109
	v_pk_add_f32 v[144:145], v[8:9], v[14:15] neg_lo:[0,1] neg_hi:[0,1]
	v_pk_add_f32 v[26:27], v[52:53], v[26:27]
	v_pk_add_f32 v[52:53], v[14:15], v[8:9]
	v_pk_mul_f32 v[54:55], v[144:145], s[20:21] op_sel:[1,0] op_sel_hi:[0,0]
	v_pk_fma_f32 v[122:123], v[52:53], s[18:19], v[54:55] op_sel_hi:[1,0,1]
	v_pk_fma_f32 v[124:125], v[52:53], s[18:19], v[54:55] op_sel_hi:[1,0,1] neg_lo:[0,0,1] neg_hi:[0,0,1]
	v_mov_b32_e32 v54, v122
	v_mov_b32_e32 v55, v125
	s_mov_b32 s52, 0x3f763a35
	v_pk_add_f32 v[24:25], v[54:55], v[24:25]
	v_pk_mul_f32 v[54:55], v[144:145], s[52:53] op_sel:[1,0] op_sel_hi:[0,0]
	v_pk_fma_f32 v[110:111], v[52:53], s[26:27], v[54:55] op_sel_hi:[1,0,1]
	v_pk_fma_f32 v[112:113], v[52:53], s[26:27], v[54:55] op_sel_hi:[1,0,1] neg_lo:[0,0,1] neg_hi:[0,0,1]
	v_mov_b32_e32 v54, v110
	v_mov_b32_e32 v55, v113
	s_mov_b32 s42, 0xbf06c442
	v_pk_add_f32 v[154:155], v[10:11], v[12:13] neg_lo:[0,1] neg_hi:[0,1]
	v_pk_add_f32 v[26:27], v[54:55], v[26:27]
	v_pk_add_f32 v[54:55], v[12:13], v[10:11]
	v_pk_mul_f32 v[56:57], v[154:155], s[42:43] op_sel:[1,0] op_sel_hi:[0,0]
	v_pk_fma_f32 v[138:139], v[54:55], s[34:35], v[56:57] op_sel_hi:[1,0,1]
	v_pk_fma_f32 v[140:141], v[54:55], s[34:35], v[56:57] op_sel_hi:[1,0,1] neg_lo:[0,0,1] neg_hi:[0,0,1]
	v_mov_b32_e32 v56, v138
	v_mov_b32_e32 v57, v141
	s_mov_b32 s40, 0x3f65296c
	v_pk_add_f32 v[64:65], v[56:57], v[24:25]
	v_pk_mul_f32 v[24:25], v[154:155], s[40:41] op_sel:[1,0] op_sel_hi:[0,0]
	v_pk_fma_f32 v[118:119], v[54:55], s[16:17], v[24:25] op_sel_hi:[1,0,1]
	v_pk_fma_f32 v[120:121], v[54:55], s[16:17], v[24:25] op_sel_hi:[1,0,1] neg_lo:[0,0,1] neg_hi:[0,0,1]
	v_mov_b32_e32 v24, v118
	v_mov_b32_e32 v25, v121
	s_mov_b32 s46, 0x3eb8f4ab
	v_pk_add_f32 v[172:173], v[4:5], v[6:7] neg_lo:[0,1] neg_hi:[0,1]
	v_pk_add_f32 v[24:25], v[24:25], v[26:27]
	v_pk_add_f32 v[58:59], v[6:7], v[4:5]
	v_pk_mul_f32 v[26:27], v[172:173], s[46:47] op_sel:[1,0] op_sel_hi:[0,0]
	v_pk_fma_f32 v[126:127], v[58:59], s[10:11], v[26:27] op_sel_hi:[1,0,1]
	v_pk_fma_f32 v[128:129], v[58:59], s[10:11], v[26:27] op_sel_hi:[1,0,1] neg_lo:[0,0,1] neg_hi:[0,0,1]
	v_mov_b32_e32 v26, v126
	v_mov_b32_e32 v27, v129
	v_pk_add_f32 v[24:25], v[26:27], v[24:25]
	v_pk_mul_f32 v[26:27], v[46:47], s[50:51] op_sel_hi:[1,0]
	v_pk_mul_f32 v[56:57], v[44:45], s[20:21] op_sel_hi:[1,0]
	v_pk_fma_f32 v[130:131], v[36:37], s[16:17], v[26:27] op_sel:[0,0,1] op_sel_hi:[1,0,0]
	v_pk_fma_f32 v[132:133], v[36:37], s[16:17], v[26:27] op_sel:[0,0,1] op_sel_hi:[1,0,0] neg_lo:[0,0,1] neg_hi:[0,0,1]
	v_mov_b32_e32 v26, v130
	v_mov_b32_e32 v27, v133
	v_pk_fma_f32 v[134:135], v[40:41], s[18:19], v[56:57] op_sel:[0,0,1] op_sel_hi:[1,0,0]
	v_pk_fma_f32 v[136:137], v[40:41], s[18:19], v[56:57] op_sel:[0,0,1] op_sel_hi:[1,0,0] neg_lo:[0,0,1] neg_hi:[0,0,1]
	v_mov_b32_e32 v56, v134
	v_mov_b32_e32 v57, v137
	v_pk_add_f32 v[26:27], v[26:27], v[0:1]
	s_mov_b32 s22, 0x3e3c28d5
	v_pk_add_f32 v[26:27], v[56:57], v[26:27]
	v_pk_mul_f32 v[56:57], v[50:51], s[22:23] op_sel_hi:[1,0]
	s_mov_b32 s48, 0x3f2c7751
	v_pk_fma_f32 v[146:147], v[48:49], s[30:31], v[56:57] op_sel:[0,0,1] op_sel_hi:[1,0,0]
	v_pk_fma_f32 v[148:149], v[48:49], s[30:31], v[56:57] op_sel:[0,0,1] op_sel_hi:[1,0,0] neg_lo:[0,0,1] neg_hi:[0,0,1]
	v_mov_b32_e32 v56, v146
	v_mov_b32_e32 v57, v149
	v_pk_add_f32 v[26:27], v[56:57], v[26:27]
	v_pk_mul_f32 v[56:57], v[62:63], s[52:53] op_sel:[1,0] op_sel_hi:[0,0]
	v_pk_fma_f32 v[150:151], v[42:43], s[26:27], v[56:57] op_sel_hi:[1,0,1]
	v_pk_fma_f32 v[152:153], v[42:43], s[26:27], v[56:57] op_sel_hi:[1,0,1] neg_lo:[0,0,1] neg_hi:[0,0,1]
	v_mov_b32_e32 v56, v150
	v_mov_b32_e32 v57, v153
	v_pk_add_f32 v[26:27], v[56:57], v[26:27]
	v_pk_mul_f32 v[56:57], v[142:143], s[48:49] op_sel:[1,0] op_sel_hi:[0,0]
	v_pk_fma_f32 v[156:157], v[38:39], s[8:9], v[56:57] op_sel_hi:[1,0,1]
	v_pk_fma_f32 v[158:159], v[38:39], s[8:9], v[56:57] op_sel_hi:[1,0,1] neg_lo:[0,0,1] neg_hi:[0,0,1]
	;; [unrolled: 6-line block ×6, first 2 shown]
	v_mov_b32_e32 v26, v174
	v_mov_b32_e32 v27, v177
	v_pk_add_f32 v[26:27], v[26:27], v[64:65]
	v_mul_lo_u16_e32 v150, 17, v82
	s_barrier
	s_and_saveexec_b64 s[22:23], s[4:5]
	s_cbranch_execz .LBB0_7
; %bb.6:
	v_pk_add_f32 v[2:3], v[2:3], v[0:1]
	v_mov_b32_e32 v73, v75
	v_pk_add_f32 v[2:3], v[32:33], v[2:3]
	v_mov_b32_e32 v93, v91
	;; [unrolled: 2-line block ×7, first 2 shown]
	v_pk_add_f32 v[2:3], v[4:5], v[2:3]
	v_pk_add_f32 v[4:5], v[72:73], v[0:1]
	;; [unrolled: 1-line block ×15, first 2 shown]
	v_mov_b32_e32 v177, v175
	v_mov_b32_e32 v69, v77
	v_add_lshl_u32 v81, v178, v150, 3
	v_pk_add_f32 v[2:3], v[60:61], v[2:3]
	v_pk_add_f32 v[4:5], v[176:177], v[4:5]
	v_mov_b32_e32 v133, v131
	v_mov_b32_e32 v71, v89
	ds_write2_b64 v81, v[2:3], v[4:5] offset1:1
	v_pk_add_f32 v[2:3], v[68:69], v[0:1]
	v_pk_add_f32 v[4:5], v[132:133], v[0:1]
	v_mov_b32_e32 v137, v135
	v_pk_add_f32 v[2:3], v[70:71], v[2:3]
	v_mov_b32_e32 v87, v79
	;; [unrolled: 2-line block ×13, first 2 shown]
	v_pk_add_f32 v[2:3], v[128:129], v[2:3]
	v_pk_add_f32 v[4:5], v[170:171], v[4:5]
	ds_write2_b64 v81, v[2:3], v[4:5] offset0:2 offset1:3
	v_pk_mul_f32 v[4:5], v[46:47], s[36:37] op_sel_hi:[1,0]
	v_pk_mul_f32 v[8:9], v[44:45], s[38:39] op_sel_hi:[1,0]
	v_pk_fma_f32 v[2:3], v[36:37], s[0:1], v[4:5] op_sel:[0,0,1] op_sel_hi:[1,0,0] neg_lo:[0,0,1] neg_hi:[0,0,1]
	v_pk_fma_f32 v[4:5], v[36:37], s[0:1], v[4:5] op_sel:[0,0,1] op_sel_hi:[1,0,0]
	v_mov_b32_e32 v6, v2
	v_mov_b32_e32 v7, v5
	v_pk_add_f32 v[10:11], v[6:7], v[0:1]
	v_pk_fma_f32 v[6:7], v[40:41], s[30:31], v[8:9] op_sel:[0,0,1] op_sel_hi:[1,0,0] neg_lo:[0,0,1] neg_hi:[0,0,1]
	v_pk_fma_f32 v[8:9], v[40:41], s[30:31], v[8:9] op_sel:[0,0,1] op_sel_hi:[1,0,0]
	v_mov_b32_e32 v12, v6
	v_mov_b32_e32 v13, v9
	v_pk_add_f32 v[14:15], v[12:13], v[10:11]
	v_pk_mul_f32 v[12:13], v[50:51], s[52:53] op_sel_hi:[1,0]
	v_mov_b32_e32 v66, v63
	v_pk_fma_f32 v[10:11], v[48:49], s[26:27], v[12:13] op_sel:[0,0,1] op_sel_hi:[1,0,0] neg_lo:[0,0,1] neg_hi:[0,0,1]
	v_pk_fma_f32 v[12:13], v[48:49], s[26:27], v[12:13] op_sel:[0,0,1] op_sel_hi:[1,0,0]
	v_mov_b32_e32 v67, v62
	v_mov_b32_e32 v16, v10
	v_mov_b32_e32 v17, v13
	v_pk_add_f32 v[18:19], v[16:17], v[14:15]
	v_pk_mul_f32 v[16:17], v[66:67], s[46:47] op_sel_hi:[1,0]
	v_mov_b32_e32 v64, v143
	v_pk_fma_f32 v[14:15], v[42:43], s[10:11], v[16:17] op_sel_hi:[1,0,1] neg_lo:[0,0,1] neg_hi:[0,0,1]
	v_pk_fma_f32 v[16:17], v[42:43], s[10:11], v[16:17] op_sel_hi:[1,0,1]
	v_mov_b32_e32 v65, v142
	v_mov_b32_e32 v20, v14
	v_mov_b32_e32 v21, v17
	v_pk_add_f32 v[22:23], v[20:21], v[18:19]
	v_pk_mul_f32 v[20:21], v[64:65], s[50:51] op_sel_hi:[1,0]
	v_mov_b32_e32 v62, v145
	v_pk_fma_f32 v[18:19], v[38:39], s[16:17], v[20:21] op_sel_hi:[1,0,1] neg_lo:[0,0,1] neg_hi:[0,0,1]
	v_pk_fma_f32 v[20:21], v[38:39], s[16:17], v[20:21] op_sel_hi:[1,0,1]
	;; [unrolled: 8-line block ×3, first 2 shown]
	v_mov_b32_e32 v35, v154
	v_mov_b32_e32 v60, v22
	;; [unrolled: 1-line block ×3, first 2 shown]
	s_mov_b32 s56, 0x3f4c4adb
	v_pk_add_f32 v[68:69], v[60:61], v[30:31]
	v_pk_mul_f32 v[60:61], v[34:35], s[56:57] op_sel_hi:[1,0]
	v_mov_b32_e32 v32, v173
	v_pk_fma_f32 v[30:31], v[54:55], s[18:19], v[60:61] op_sel_hi:[1,0,1] neg_lo:[0,0,1] neg_hi:[0,0,1]
	v_pk_fma_f32 v[60:61], v[54:55], s[18:19], v[60:61] op_sel_hi:[1,0,1]
	v_mov_b32_e32 v33, v172
	v_mov_b32_e32 v70, v30
	;; [unrolled: 1-line block ×3, first 2 shown]
	v_pk_add_f32 v[72:73], v[70:71], v[68:69]
	v_pk_mul_f32 v[70:71], v[32:33], s[48:49] op_sel_hi:[1,0]
	v_pk_mul_f32 v[78:79], v[44:45], s[54:55] op_sel_hi:[1,0]
	v_pk_fma_f32 v[68:69], v[58:59], s[8:9], v[70:71] op_sel_hi:[1,0,1] neg_lo:[0,0,1] neg_hi:[0,0,1]
	v_pk_fma_f32 v[70:71], v[58:59], s[8:9], v[70:71] op_sel_hi:[1,0,1]
	v_mov_b32_e32 v74, v68
	v_mov_b32_e32 v75, v71
	v_pk_add_f32 v[110:111], v[74:75], v[72:73]
	v_pk_mul_f32 v[74:75], v[46:47], s[28:29] op_sel_hi:[1,0]
	v_pk_mul_f32 v[88:89], v[50:51], s[48:49] op_sel_hi:[1,0]
	v_pk_fma_f32 v[72:73], v[36:37], s[26:27], v[74:75] op_sel:[0,0,1] op_sel_hi:[1,0,0] neg_lo:[0,0,1] neg_hi:[0,0,1]
	v_pk_fma_f32 v[74:75], v[36:37], s[26:27], v[74:75] op_sel:[0,0,1] op_sel_hi:[1,0,0]
	v_mov_b32_e32 v76, v72
	v_mov_b32_e32 v77, v75
	v_pk_add_f32 v[86:87], v[76:77], v[0:1]
	v_pk_fma_f32 v[76:77], v[40:41], s[34:35], v[78:79] op_sel:[0,0,1] op_sel_hi:[1,0,0] neg_lo:[0,0,1] neg_hi:[0,0,1]
	v_pk_fma_f32 v[78:79], v[40:41], s[34:35], v[78:79] op_sel:[0,0,1] op_sel_hi:[1,0,0]
	v_mov_b32_e32 v90, v76
	v_mov_b32_e32 v91, v79
	v_pk_add_f32 v[90:91], v[90:91], v[86:87]
	v_pk_fma_f32 v[86:87], v[48:49], s[8:9], v[88:89] op_sel:[0,0,1] op_sel_hi:[1,0,0] neg_lo:[0,0,1] neg_hi:[0,0,1]
	v_pk_fma_f32 v[88:89], v[48:49], s[8:9], v[88:89] op_sel:[0,0,1] op_sel_hi:[1,0,0]
	v_pk_mul_f32 v[92:93], v[66:67], s[50:51] op_sel_hi:[1,0]
	v_mov_b32_e32 v94, v86
	v_mov_b32_e32 v95, v89
	v_pk_add_f32 v[94:95], v[94:95], v[90:91]
	v_pk_fma_f32 v[90:91], v[42:43], s[16:17], v[92:93] op_sel_hi:[1,0,1] neg_lo:[0,0,1] neg_hi:[0,0,1]
	v_pk_fma_f32 v[92:93], v[42:43], s[16:17], v[92:93] op_sel_hi:[1,0,1]
	v_pk_mul_f32 v[96:97], v[64:65], s[38:39] op_sel_hi:[1,0]
	v_mov_b32_e32 v98, v90
	v_mov_b32_e32 v99, v93
	s_mov_b32 s50, 0x3f7ee86f
	v_pk_add_f32 v[98:99], v[98:99], v[94:95]
	v_pk_fma_f32 v[94:95], v[38:39], s[30:31], v[96:97] op_sel_hi:[1,0,1] neg_lo:[0,0,1] neg_hi:[0,0,1]
	v_pk_fma_f32 v[96:97], v[38:39], s[30:31], v[96:97] op_sel_hi:[1,0,1]
	v_pk_mul_f32 v[100:101], v[62:63], s[50:51] op_sel_hi:[1,0]
	v_mov_b32_e32 v102, v94
	v_mov_b32_e32 v103, v97
	v_pk_add_f32 v[102:103], v[102:103], v[98:99]
	v_pk_fma_f32 v[98:99], v[52:53], s[0:1], v[100:101] op_sel_hi:[1,0,1] neg_lo:[0,0,1] neg_hi:[0,0,1]
	v_pk_fma_f32 v[100:101], v[52:53], s[0:1], v[100:101] op_sel_hi:[1,0,1]
	v_pk_mul_f32 v[104:105], v[34:35], s[24:25] op_sel_hi:[1,0]
	v_mov_b32_e32 v106, v98
	v_mov_b32_e32 v107, v101
	v_pk_add_f32 v[106:107], v[106:107], v[102:103]
	v_pk_fma_f32 v[102:103], v[54:55], s[10:11], v[104:105] op_sel_hi:[1,0,1] neg_lo:[0,0,1] neg_hi:[0,0,1]
	v_pk_fma_f32 v[104:105], v[54:55], s[10:11], v[104:105] op_sel_hi:[1,0,1]
	v_pk_mul_f32 v[108:109], v[32:33], s[20:21] op_sel_hi:[1,0]
	v_mov_b32_e32 v112, v102
	v_mov_b32_e32 v113, v105
	v_pk_add_f32 v[112:113], v[112:113], v[106:107]
	v_pk_fma_f32 v[106:107], v[58:59], s[18:19], v[108:109] op_sel_hi:[1,0,1] neg_lo:[0,0,1] neg_hi:[0,0,1]
	v_pk_fma_f32 v[108:109], v[58:59], s[18:19], v[108:109] op_sel_hi:[1,0,1]
	v_mov_b32_e32 v114, v106
	v_mov_b32_e32 v115, v109
	v_pk_add_f32 v[112:113], v[114:115], v[112:113]
	ds_write2_b64 v81, v[110:111], v[112:113] offset0:4 offset1:5
	v_pk_mul_f32 v[110:111], v[46:47], s[20:21] op_sel_hi:[1,0]
	v_pk_mul_f32 v[112:113], v[44:45], s[52:53] op_sel_hi:[1,0]
	v_pk_fma_f32 v[126:127], v[36:37], s[18:19], v[110:111] op_sel:[0,0,1] op_sel_hi:[1,0,0] neg_lo:[0,0,1] neg_hi:[0,0,1]
	v_pk_fma_f32 v[110:111], v[36:37], s[18:19], v[110:111] op_sel:[0,0,1] op_sel_hi:[1,0,0]
	v_mov_b32_e32 v128, v126
	v_mov_b32_e32 v129, v111
	v_pk_fma_f32 v[130:131], v[40:41], s[26:27], v[112:113] op_sel:[0,0,1] op_sel_hi:[1,0,0] neg_lo:[0,0,1] neg_hi:[0,0,1]
	v_pk_fma_f32 v[112:113], v[40:41], s[26:27], v[112:113] op_sel:[0,0,1] op_sel_hi:[1,0,0]
	v_pk_mul_f32 v[114:115], v[50:51], s[24:25] op_sel_hi:[1,0]
	v_pk_add_f32 v[128:129], v[128:129], v[0:1]
	v_mov_b32_e32 v132, v130
	v_mov_b32_e32 v133, v113
	v_pk_add_f32 v[128:129], v[132:133], v[128:129]
	v_pk_fma_f32 v[132:133], v[48:49], s[10:11], v[114:115] op_sel:[0,0,1] op_sel_hi:[1,0,0] neg_lo:[0,0,1] neg_hi:[0,0,1]
	v_pk_fma_f32 v[114:115], v[48:49], s[10:11], v[114:115] op_sel:[0,0,1] op_sel_hi:[1,0,0]
	v_pk_mul_f32 v[116:117], v[66:67], s[42:43] op_sel_hi:[1,0]
	v_mov_b32_e32 v134, v132
	v_mov_b32_e32 v135, v115
	v_pk_add_f32 v[128:129], v[134:135], v[128:129]
	v_pk_fma_f32 v[134:135], v[42:43], s[34:35], v[116:117] op_sel_hi:[1,0,1] neg_lo:[0,0,1] neg_hi:[0,0,1]
	v_pk_fma_f32 v[116:117], v[42:43], s[34:35], v[116:117] op_sel_hi:[1,0,1]
	v_pk_mul_f32 v[118:119], v[64:65], s[50:51] op_sel_hi:[1,0]
	v_mov_b32_e32 v136, v134
	v_mov_b32_e32 v137, v117
	v_pk_add_f32 v[128:129], v[136:137], v[128:129]
	v_pk_fma_f32 v[136:137], v[38:39], s[0:1], v[118:119] op_sel_hi:[1,0,1] neg_lo:[0,0,1] neg_hi:[0,0,1]
	v_pk_fma_f32 v[118:119], v[38:39], s[0:1], v[118:119] op_sel_hi:[1,0,1]
	;; [unrolled: 6-line block ×5, first 2 shown]
	v_mov_b32_e32 v144, v142
	v_mov_b32_e32 v145, v125
	v_pk_add_f32 v[128:129], v[144:145], v[128:129]
	v_pk_mul_f32 v[144:145], v[46:47], s[42:43] op_sel_hi:[1,0]
	v_pk_mul_f32 v[146:147], v[44:45], s[40:41] op_sel_hi:[1,0]
	v_pk_fma_f32 v[154:155], v[36:37], s[34:35], v[144:145] op_sel:[0,0,1] op_sel_hi:[1,0,0] neg_lo:[0,0,1] neg_hi:[0,0,1]
	v_pk_fma_f32 v[144:145], v[36:37], s[34:35], v[144:145] op_sel:[0,0,1] op_sel_hi:[1,0,0]
	v_mov_b32_e32 v156, v154
	v_mov_b32_e32 v157, v145
	v_pk_fma_f32 v[158:159], v[40:41], s[16:17], v[146:147] op_sel:[0,0,1] op_sel_hi:[1,0,0] neg_lo:[0,0,1] neg_hi:[0,0,1]
	v_pk_fma_f32 v[146:147], v[40:41], s[16:17], v[146:147] op_sel:[0,0,1] op_sel_hi:[1,0,0]
	v_pk_mul_f32 v[148:149], v[50:51], s[36:37] op_sel_hi:[1,0]
	v_pk_add_f32 v[156:157], v[156:157], v[0:1]
	v_mov_b32_e32 v160, v158
	v_mov_b32_e32 v161, v147
	v_pk_add_f32 v[156:157], v[160:161], v[156:157]
	v_pk_fma_f32 v[160:161], v[48:49], s[0:1], v[148:149] op_sel:[0,0,1] op_sel_hi:[1,0,0] neg_lo:[0,0,1] neg_hi:[0,0,1]
	v_pk_fma_f32 v[148:149], v[48:49], s[0:1], v[148:149] op_sel:[0,0,1] op_sel_hi:[1,0,0]
	v_pk_mul_f32 v[152:153], v[66:67], s[56:57] op_sel_hi:[1,0]
	v_mov_b32_e32 v162, v160
	v_mov_b32_e32 v163, v149
	v_pk_add_f32 v[156:157], v[162:163], v[156:157]
	v_pk_fma_f32 v[162:163], v[42:43], s[18:19], v[152:153] op_sel_hi:[1,0,1] neg_lo:[0,0,1] neg_hi:[0,0,1]
	v_pk_fma_f32 v[152:153], v[42:43], s[18:19], v[152:153] op_sel_hi:[1,0,1]
	v_mov_b32_e32 v164, v162
	v_mov_b32_e32 v165, v153
	v_pk_add_f32 v[156:157], v[164:165], v[156:157]
	v_pk_mul_f32 v[164:165], v[64:65], s[24:25] op_sel_hi:[1,0]
	v_pk_mul_f32 v[46:47], v[46:47], s[38:39] op_sel_hi:[1,0]
	v_pk_fma_f32 v[166:167], v[38:39], s[10:11], v[164:165] op_sel_hi:[1,0,1] neg_lo:[0,0,1] neg_hi:[0,0,1]
	v_pk_fma_f32 v[164:165], v[38:39], s[10:11], v[164:165] op_sel_hi:[1,0,1]
	v_mov_b32_e32 v168, v166
	v_mov_b32_e32 v169, v165
	v_pk_add_f32 v[156:157], v[168:169], v[156:157]
	v_pk_mul_f32 v[168:169], v[62:63], s[38:39] op_sel_hi:[1,0]
	v_pk_mul_f32 v[44:45], v[44:45], s[46:47] op_sel_hi:[1,0]
	;; [unrolled: 7-line block ×4, first 2 shown]
	v_pk_fma_f32 v[180:181], v[58:59], s[26:27], v[176:177] op_sel_hi:[1,0,1] neg_lo:[0,0,1] neg_hi:[0,0,1]
	v_pk_fma_f32 v[176:177], v[58:59], s[26:27], v[176:177] op_sel_hi:[1,0,1]
	v_mov_b32_e32 v182, v180
	v_mov_b32_e32 v183, v177
	v_pk_add_f32 v[156:157], v[182:183], v[156:157]
	ds_write2_b64 v81, v[128:129], v[156:157] offset0:6 offset1:7
	v_pk_fma_f32 v[128:129], v[36:37], s[30:31], v[46:47] op_sel:[0,0,1] op_sel_hi:[1,0,0] neg_lo:[0,0,1] neg_hi:[0,0,1]
	v_pk_fma_f32 v[36:37], v[36:37], s[30:31], v[46:47] op_sel:[0,0,1] op_sel_hi:[1,0,0]
	v_pk_fma_f32 v[46:47], v[40:41], s[10:11], v[44:45] op_sel:[0,0,1] op_sel_hi:[1,0,0] neg_lo:[0,0,1] neg_hi:[0,0,1]
	v_pk_fma_f32 v[40:41], v[40:41], s[10:11], v[44:45] op_sel:[0,0,1] op_sel_hi:[1,0,0]
	v_mov_b32_e32 v44, v128
	v_mov_b32_e32 v45, v37
	v_pk_add_f32 v[44:45], v[44:45], v[0:1]
	v_mov_b32_e32 v156, v46
	v_mov_b32_e32 v157, v41
	v_pk_add_f32 v[44:45], v[156:157], v[44:45]
	v_pk_fma_f32 v[156:157], v[48:49], s[34:35], v[50:51] op_sel:[0,0,1] op_sel_hi:[1,0,0] neg_lo:[0,0,1] neg_hi:[0,0,1]
	v_pk_fma_f32 v[48:49], v[48:49], s[34:35], v[50:51] op_sel:[0,0,1] op_sel_hi:[1,0,0]
	v_mov_b32_e32 v50, v156
	v_mov_b32_e32 v51, v49
	v_pk_add_f32 v[44:45], v[50:51], v[44:45]
	v_pk_mul_f32 v[50:51], v[66:67], s[48:49] op_sel_hi:[1,0]
	v_mov_b32_e32 v37, v129
	v_pk_fma_f32 v[66:67], v[42:43], s[8:9], v[50:51] op_sel_hi:[1,0,1] neg_lo:[0,0,1] neg_hi:[0,0,1]
	v_pk_fma_f32 v[42:43], v[42:43], s[8:9], v[50:51] op_sel_hi:[1,0,1]
	v_mov_b32_e32 v50, v66
	v_mov_b32_e32 v51, v43
	v_pk_add_f32 v[44:45], v[50:51], v[44:45]
	v_pk_mul_f32 v[50:51], v[64:65], s[20:21] op_sel_hi:[1,0]
	v_mov_b32_e32 v41, v47
	v_pk_fma_f32 v[64:65], v[38:39], s[18:19], v[50:51] op_sel_hi:[1,0,1] neg_lo:[0,0,1] neg_hi:[0,0,1]
	v_pk_fma_f32 v[38:39], v[38:39], s[18:19], v[50:51] op_sel_hi:[1,0,1]
	v_mov_b32_e32 v50, v64
	v_mov_b32_e32 v51, v39
	v_pk_add_f32 v[44:45], v[50:51], v[44:45]
	v_pk_mul_f32 v[50:51], v[62:63], s[40:41] op_sel_hi:[1,0]
	v_pk_add_f32 v[36:37], v[36:37], v[0:1]
	v_pk_fma_f32 v[62:63], v[52:53], s[16:17], v[50:51] op_sel_hi:[1,0,1] neg_lo:[0,0,1] neg_hi:[0,0,1]
	v_pk_fma_f32 v[50:51], v[52:53], s[16:17], v[50:51] op_sel_hi:[1,0,1]
	v_pk_add_f32 v[36:37], v[40:41], v[36:37]
	v_mov_b32_e32 v49, v157
	v_mov_b32_e32 v52, v62
	;; [unrolled: 1-line block ×3, first 2 shown]
	v_pk_add_f32 v[36:37], v[48:49], v[36:37]
	v_mov_b32_e32 v43, v67
	v_pk_add_f32 v[44:45], v[52:53], v[44:45]
	v_pk_fma_f32 v[52:53], v[54:55], s[26:27], v[34:35] op_sel_hi:[1,0,1] neg_lo:[0,0,1] neg_hi:[0,0,1]
	v_pk_fma_f32 v[34:35], v[54:55], s[26:27], v[34:35] op_sel_hi:[1,0,1]
	v_pk_add_f32 v[36:37], v[42:43], v[36:37]
	v_mov_b32_e32 v39, v65
	v_mov_b32_e32 v54, v52
	v_mov_b32_e32 v55, v35
	v_pk_mul_f32 v[32:33], v[32:33], s[50:51] op_sel_hi:[1,0]
	v_pk_add_f32 v[36:37], v[38:39], v[36:37]
	v_mov_b32_e32 v51, v63
	v_pk_add_f32 v[44:45], v[54:55], v[44:45]
	v_pk_fma_f32 v[54:55], v[58:59], s[0:1], v[32:33] op_sel_hi:[1,0,1] neg_lo:[0,0,1] neg_hi:[0,0,1]
	v_pk_fma_f32 v[32:33], v[58:59], s[0:1], v[32:33] op_sel_hi:[1,0,1]
	v_pk_add_f32 v[36:37], v[50:51], v[36:37]
	v_mov_b32_e32 v35, v53
	v_mov_b32_e32 v58, v54
	;; [unrolled: 1-line block ×3, first 2 shown]
	v_pk_add_f32 v[34:35], v[34:35], v[36:37]
	v_mov_b32_e32 v33, v55
	v_pk_add_f32 v[44:45], v[58:59], v[44:45]
	v_pk_add_f32 v[32:33], v[32:33], v[34:35]
	v_mov_b32_e32 v145, v155
	v_mov_b32_e32 v111, v127
	ds_write2_b64 v81, v[44:45], v[32:33] offset0:8 offset1:9
	v_pk_add_f32 v[32:33], v[144:145], v[0:1]
	v_mov_b32_e32 v147, v159
	v_pk_add_f32 v[34:35], v[110:111], v[0:1]
	v_mov_b32_e32 v113, v131
	;; [unrolled: 2-line block ×14, first 2 shown]
	v_pk_add_f32 v[32:33], v[176:177], v[32:33]
	v_pk_add_f32 v[34:35], v[124:125], v[34:35]
	v_mov_b32_e32 v75, v73
	v_mov_b32_e32 v5, v3
	ds_write2_b64 v81, v[32:33], v[34:35] offset0:10 offset1:11
	v_pk_add_f32 v[32:33], v[74:75], v[0:1]
	v_mov_b32_e32 v79, v77
	v_pk_add_f32 v[0:1], v[4:5], v[0:1]
	v_mov_b32_e32 v9, v7
	;; [unrolled: 2-line block ×14, first 2 shown]
	v_pk_add_f32 v[32:33], v[108:109], v[32:33]
	v_pk_add_f32 v[0:1], v[70:71], v[0:1]
	ds_write2_b64 v81, v[32:33], v[0:1] offset0:12 offset1:13
	ds_write2_b64 v81, v[56:57], v[24:25] offset0:14 offset1:15
	ds_write_b64 v81, v[26:27] offset:128
.LBB0_7:
	s_or_b64 exec, exec, s[22:23]
	s_mov_b64 s[0:1], 0x1a9
	s_load_dwordx4 s[8:11], s[2:3], 0x0
	v_lshl_add_u64 v[0:1], v[82:83], 0, s[0:1]
	s_mov_b32 s2, 0xf0f1
	v_mul_u32_u24_sdwa v1, v0, s2 dst_sel:DWORD dst_unused:UNUSED_PAD src0_sel:WORD_0 src1_sel:DWORD
	s_mov_b64 s[0:1], 0x1fe
	v_lshrrev_b32_e32 v34, 20, v1
	v_lshl_add_u64 v[2:3], v[82:83], 0, s[0:1]
	v_mul_lo_u16_e32 v1, 17, v34
	v_sub_u16_e32 v35, v0, v1
	v_mul_u32_u24_sdwa v1, v2, s2 dst_sel:DWORD dst_unused:UNUSED_PAD src0_sel:WORD_0 src1_sel:DWORD
	v_lshrrev_b32_e32 v38, 20, v1
	v_mul_lo_u16_e32 v1, 17, v38
	v_lshlrev_b32_e32 v0, 3, v35
	v_sub_u16_e32 v39, v2, v1
	s_waitcnt lgkmcnt(0)
	s_barrier
	global_load_dwordx2 v[162:163], v0, s[6:7]
	v_lshlrev_b32_e32 v0, 3, v39
	s_mov_b64 s[0:1], 0x154
	global_load_dwordx2 v[160:161], v0, s[6:7]
	v_lshl_add_u64 v[0:1], v[82:83], 0, s[0:1]
	v_mul_u32_u24_sdwa v1, v0, s2 dst_sel:DWORD dst_unused:UNUSED_PAD src0_sel:WORD_0 src1_sel:DWORD
	v_lshrrev_b32_e32 v22, 20, v1
	v_mul_lo_u16_e32 v1, 17, v22
	v_sub_u16_e32 v23, v0, v1
	v_lshlrev_b32_e32 v0, 3, v23
	s_mov_b64 s[0:1], 0xff
	global_load_dwordx2 v[156:157], v0, s[6:7]
	v_lshl_add_u64 v[0:1], v[82:83], 0, s[0:1]
	v_mul_u32_u24_sdwa v1, v0, s2 dst_sel:DWORD dst_unused:UNUSED_PAD src0_sel:WORD_0 src1_sel:DWORD
	v_lshrrev_b32_e32 v28, 20, v1
	v_mul_lo_u16_e32 v1, 17, v28
	v_sub_u16_e32 v29, v0, v1
	s_movk_i32 s0, 0xf1
	v_lshlrev_b32_e32 v0, 3, v29
	v_add_u16_e32 v62, 0xaa, v82
	global_load_dwordx2 v[158:159], v0, s[6:7]
	v_mul_lo_u16_sdwa v0, v62, s0 dst_sel:DWORD dst_unused:UNUSED_PAD src0_sel:BYTE_0 src1_sel:DWORD
	v_lshrrev_b16_e32 v10, 12, v0
	v_mul_lo_u16_e32 v1, 17, v10
	v_add_u16_e32 v36, 0x55, v82
	v_mov_b32_e32 v2, 3
	v_sub_u16_e32 v30, v62, v1
	v_mul_lo_u16_sdwa v37, v36, s0 dst_sel:DWORD dst_unused:UNUSED_PAD src0_sel:BYTE_0 src1_sel:DWORD
	v_lshlrev_b32_sdwa v1, v2, v30 dst_sel:DWORD dst_unused:UNUSED_PAD src0_sel:DWORD src1_sel:BYTE_0
	v_lshrrev_b16_e32 v11, 12, v37
	global_load_dwordx2 v[152:153], v1, s[6:7]
	v_mul_lo_u16_e32 v1, 17, v11
	v_sub_u16_e32 v16, v36, v1
	v_lshlrev_b32_sdwa v1, v2, v16 dst_sel:DWORD dst_unused:UNUSED_PAD src0_sel:DWORD src1_sel:BYTE_0
	global_load_dwordx2 v[98:99], v1, s[6:7]
	v_mul_lo_u16_sdwa v1, v82, s0 dst_sel:DWORD dst_unused:UNUSED_PAD src0_sel:BYTE_0 src1_sel:DWORD
	v_lshrrev_b16_e32 v17, 12, v1
	v_mul_lo_u16_e32 v3, 17, v17
	v_sub_u16_e32 v18, v82, v3
	v_lshlrev_b32_sdwa v2, v2, v18 dst_sel:DWORD dst_unused:UNUSED_PAD src0_sel:DWORD src1_sel:BYTE_0
	global_load_dwordx2 v[86:87], v2, s[6:7]
	v_add_lshl_u32 v83, v178, v82, 3
	v_add_u32_e32 v2, 0x800, v83
	v_add_u32_e32 v40, 0x1c00, v83
	;; [unrolled: 1-line block ×3, first 2 shown]
	ds_read2_b64 v[2:5], v2 offset0:84 offset1:169
	ds_read2_b64 v[6:9], v40 offset0:124 offset1:209
	;; [unrolled: 1-line block ×3, first 2 shown]
	v_mul_lo_u16_e32 v17, 34, v17
	v_mul_u32_u24_e32 v31, 34, v10
	v_and_b32_e32 v10, 0xfe, v17
	v_mul_u32_u24_e32 v11, 34, v11
	v_add_u32_sdwa v10, v10, v18 dst_sel:DWORD dst_unused:UNUSED_PAD src0_sel:DWORD src1_sel:BYTE_0
	v_add_u32_sdwa v11, v11, v16 dst_sel:DWORD dst_unused:UNUSED_PAD src0_sel:DWORD src1_sel:BYTE_0
	v_add_lshl_u32 v81, v178, v10, 3
	v_add_lshl_u32 v151, v178, v11, 3
	s_movk_i32 s0, 0x44
	v_cmp_gt_u16_e64 s[2:3], s0, v82
	s_waitcnt vmcnt(6)
	v_mov_b32_e32 v10, v163
	s_waitcnt lgkmcnt(1)
	v_pk_mul_f32 v[16:17], v[6:7], v[162:163] op_sel:[1,0] op_sel_hi:[0,1]
	v_pk_mul_f32 v[10:11], v[6:7], v[10:11] op_sel:[1,0] op_sel_hi:[0,1]
	v_mov_b32_e32 v17, v16
	v_pk_fma_f32 v[10:11], v[6:7], v[162:163], v[10:11] neg_lo:[0,0,1] neg_hi:[0,0,1]
	v_pk_fma_f32 v[6:7], v[6:7], v[162:163], v[16:17] op_sel:[1,0,0] op_sel_hi:[0,1,1]
	s_waitcnt vmcnt(5)
	v_pk_mul_f32 v[18:19], v[8:9], v[160:161] op_sel:[0,1]
	v_mov_b32_e32 v11, v7
	v_pk_fma_f32 v[20:21], v[8:9], v[160:161], v[18:19] op_sel:[0,0,1] op_sel_hi:[1,1,0] neg_lo:[0,0,1] neg_hi:[0,0,1]
	v_pk_fma_f32 v[8:9], v[8:9], v[160:161], v[18:19] op_sel:[0,0,1] op_sel_hi:[1,0,0]
	v_pk_add_f32 v[10:11], v[4:5], v[10:11] neg_lo:[0,1] neg_hi:[0,1]
	v_mov_b32_e32 v21, v9
	v_pk_fma_f32 v[8:9], v[4:5], 2.0, v[10:11] op_sel_hi:[1,0,1] neg_lo:[0,0,1] neg_hi:[0,0,1]
	v_add_u32_sdwa v4, v31, v30 dst_sel:DWORD dst_unused:UNUSED_PAD src0_sel:DWORD src1_sel:BYTE_0
	v_add_lshl_u32 v164, v178, v4, 3
	v_add_u32_e32 v4, 0x1800, v83
	ds_read2_b64 v[4:7], v4 offset0:82 offset1:167
	s_waitcnt lgkmcnt(1)
	v_pk_add_f32 v[54:55], v[12:13], v[20:21] neg_lo:[0,1] neg_hi:[0,1]
	v_add_u32_e32 v20, 0x1000, v83
	v_pk_fma_f32 v[52:53], v[12:13], 2.0, v[54:55] op_sel_hi:[1,0,1] neg_lo:[0,0,1] neg_hi:[0,0,1]
	v_mad_legacy_u16 v12, v28, 34, v29
	v_add_lshl_u32 v165, v178, v12, 3
	v_mad_legacy_u16 v12, v22, 34, v23
	v_add_lshl_u32 v166, v178, v12, 3
	s_waitcnt vmcnt(4) lgkmcnt(0)
	v_pk_mul_f32 v[12:13], v[6:7], v[156:157] op_sel:[0,1]
	ds_read2_b64 v[20:23], v20 offset0:168 offset1:253
	v_pk_fma_f32 v[16:17], v[6:7], v[156:157], v[12:13] op_sel:[0,0,1] op_sel_hi:[1,1,0] neg_lo:[0,0,1] neg_hi:[0,0,1]
	v_pk_fma_f32 v[6:7], v[6:7], v[156:157], v[12:13] op_sel:[0,0,1] op_sel_hi:[1,0,0]
	s_waitcnt vmcnt(1) lgkmcnt(0)
	v_pk_mul_f32 v[30:31], v[20:21], v[98:99] op_sel:[0,1]
	v_mov_b32_e32 v17, v7
	v_pk_add_f32 v[12:13], v[2:3], v[16:17] neg_lo:[0,1] neg_hi:[0,1]
	ds_read2_b64 v[16:19], v83 offset0:170 offset1:255
	v_pk_mul_f32 v[6:7], v[4:5], v[158:159] op_sel:[0,1]
	v_pk_fma_f32 v[32:33], v[20:21], v[98:99], v[30:31] op_sel:[0,0,1] op_sel_hi:[1,1,0] neg_lo:[0,0,1] neg_hi:[0,0,1]
	v_pk_fma_f32 v[28:29], v[4:5], v[158:159], v[6:7] op_sel:[0,0,1] op_sel_hi:[1,1,0] neg_lo:[0,0,1] neg_hi:[0,0,1]
	v_pk_fma_f32 v[4:5], v[4:5], v[158:159], v[6:7] op_sel:[0,0,1] op_sel_hi:[1,0,0]
	v_pk_fma_f32 v[20:21], v[20:21], v[98:99], v[30:31] op_sel:[0,0,1] op_sel_hi:[1,0,0]
	v_mov_b32_e32 v29, v5
	v_pk_mul_f32 v[4:5], v[22:23], v[152:153] op_sel:[0,1]
	v_mov_b32_e32 v33, v21
	v_pk_fma_f32 v[6:7], v[22:23], v[152:153], v[4:5] op_sel:[0,0,1] op_sel_hi:[1,1,0] neg_lo:[0,0,1] neg_hi:[0,0,1]
	v_pk_fma_f32 v[4:5], v[22:23], v[152:153], v[4:5] op_sel:[0,0,1] op_sel_hi:[1,0,0]
	s_waitcnt vmcnt(0)
	v_pk_mul_f32 v[30:31], v[14:15], v[86:87] op_sel:[0,1]
	v_mov_b32_e32 v7, v5
	s_waitcnt lgkmcnt(0)
	v_pk_add_f32 v[22:23], v[16:17], v[6:7] neg_lo:[0,1] neg_hi:[0,1]
	ds_read2_b64 v[4:7], v83 offset1:85
	v_pk_add_f32 v[28:29], v[18:19], v[28:29] neg_lo:[0,1] neg_hi:[0,1]
	v_pk_fma_f32 v[16:17], v[16:17], 2.0, v[22:23] op_sel_hi:[1,0,1] neg_lo:[0,0,1] neg_hi:[0,0,1]
	s_waitcnt lgkmcnt(0)
	s_barrier
	v_pk_add_f32 v[20:21], v[6:7], v[32:33] neg_lo:[0,1] neg_hi:[0,1]
	v_pk_fma_f32 v[32:33], v[14:15], v[86:87], v[30:31] op_sel:[0,0,1] op_sel_hi:[1,1,0] neg_lo:[0,0,1] neg_hi:[0,0,1]
	v_pk_fma_f32 v[14:15], v[14:15], v[86:87], v[30:31] op_sel:[0,0,1] op_sel_hi:[1,0,0]
	v_pk_fma_f32 v[6:7], v[6:7], 2.0, v[20:21] op_sel_hi:[1,0,1] neg_lo:[0,0,1] neg_hi:[0,0,1]
	v_mov_b32_e32 v33, v15
	v_pk_add_f32 v[14:15], v[4:5], v[32:33] neg_lo:[0,1] neg_hi:[0,1]
	s_nop 0
	v_pk_fma_f32 v[4:5], v[4:5], 2.0, v[14:15] op_sel_hi:[1,0,1] neg_lo:[0,0,1] neg_hi:[0,0,1]
	ds_write2_b64 v81, v[4:5], v[14:15] offset1:17
	ds_write2_b64 v151, v[6:7], v[20:21] offset1:17
	;; [unrolled: 1-line block ×3, first 2 shown]
	v_pk_fma_f32 v[4:5], v[18:19], 2.0, v[28:29] op_sel_hi:[1,0,1] neg_lo:[0,0,1] neg_hi:[0,0,1]
	v_pk_fma_f32 v[2:3], v[2:3], 2.0, v[12:13] op_sel_hi:[1,0,1] neg_lo:[0,0,1] neg_hi:[0,0,1]
	ds_write2_b64 v165, v[4:5], v[28:29] offset1:17
	ds_write2_b64 v166, v[2:3], v[12:13] offset1:17
	v_mad_legacy_u16 v2, v34, 34, v35
	v_add_lshl_u32 v167, v178, v2, 3
	v_mad_legacy_u16 v2, v38, 34, v39
	v_add_lshl_u32 v168, v178, v2, 3
	v_add_u32_e32 v2, 0x400, v83
	ds_write2_b64 v167, v[8:9], v[10:11] offset1:17
	ds_write2_b64 v168, v[52:53], v[54:55] offset1:17
	s_waitcnt lgkmcnt(0)
	s_barrier
	ds_read2_b64 v[12:15], v83 offset1:85
	ds_read2_b64 v[48:51], v2 offset0:110 offset1:195
	ds_read2_b64 v[44:47], v41 offset0:92 offset1:177
	v_add_u32_e32 v2, 0x1400, v83
	ds_read2_b64 v[32:35], v2 offset0:74 offset1:159
	ds_read2_b64 v[28:31], v40 offset0:56 offset1:141
	s_and_saveexec_b64 s[0:1], s[2:3]
	s_cbranch_execz .LBB0_9
; %bb.8:
	v_add_u32_e32 v3, 0x500, v83
	ds_read2_b64 v[8:11], v3 offset0:10 offset1:248
	ds_read2_b64 v[52:55], v2 offset0:6 offset1:244
	ds_read_b64 v[56:57], v83 offset:8976
.LBB0_9:
	s_or_b64 exec, exec, s[0:1]
	v_lshrrev_b16_e32 v96, 13, v0
	v_mul_lo_u16_e32 v0, 34, v96
	v_mov_b32_e32 v2, 5
	v_sub_u16_e32 v97, v62, v0
	v_lshrrev_b16_e32 v1, 13, v1
	v_lshlrev_b32_sdwa v0, v2, v97 dst_sel:DWORD dst_unused:UNUSED_PAD src0_sel:DWORD src1_sel:BYTE_0
	global_load_dwordx4 v[88:91], v0, s[6:7] offset:152
	global_load_dwordx4 v[92:95], v0, s[6:7] offset:136
	v_mul_lo_u16_e32 v0, 34, v1
	v_sub_u16_e32 v0, v82, v0
	v_lshlrev_b32_sdwa v3, v2, v0 dst_sel:DWORD dst_unused:UNUSED_PAD src0_sel:DWORD src1_sel:BYTE_0
	global_load_dwordx4 v[20:23], v3, s[6:7] offset:136
	global_load_dwordx4 v[16:19], v3, s[6:7] offset:152
	v_lshrrev_b16_e32 v3, 13, v37
	v_mul_lo_u16_e32 v4, 34, v3
	v_sub_u16_e32 v4, v36, v4
	v_lshlrev_b32_sdwa v2, v2, v4 dst_sel:DWORD dst_unused:UNUSED_PAD src0_sel:DWORD src1_sel:BYTE_0
	global_load_dwordx4 v[36:39], v2, s[6:7] offset:152
	global_load_dwordx4 v[40:43], v2, s[6:7] offset:136
	s_mov_b32 s16, 0x3f737871
	s_mov_b32 s18, 0x3f167918
	s_mov_b32 s0, 0x3e9e377a
	v_mul_u32_u24_e32 v1, 0xaa, v1
	v_add_u32_sdwa v0, v1, v0 dst_sel:DWORD dst_unused:UNUSED_PAD src0_sel:DWORD src1_sel:BYTE_0
	v_add_lshl_u32 v169, v178, v0, 3
	s_waitcnt lgkmcnt(0)
	s_barrier
	v_mul_u32_u24_e32 v0, 0xaa, v3
	v_add_u32_sdwa v0, v0, v4 dst_sel:DWORD dst_unused:UNUSED_PAD src0_sel:DWORD src1_sel:BYTE_0
	v_add_lshl_u32 v170, v178, v0, 3
	s_waitcnt vmcnt(5)
	v_pk_mul_f32 v[66:67], v[54:55], v[88:89] op_sel:[1,0]
	s_waitcnt vmcnt(4)
	v_pk_mul_f32 v[60:61], v[10:11], v[92:93] op_sel:[1,0]
	v_pk_mul_f32 v[64:65], v[52:53], v[94:95] op_sel:[1,0]
	;; [unrolled: 1-line block ×3, first 2 shown]
	s_waitcnt vmcnt(3)
	v_pk_mul_f32 v[70:71], v[48:49], v[20:21] op_sel:[0,1]
	v_mov_b32_e32 v72, v23
	s_waitcnt vmcnt(2)
	v_mov_b32_e32 v76, v19
	v_pk_mul_f32 v[74:75], v[32:33], v[16:17] op_sel:[0,1]
	v_pk_fma_f32 v[58:59], v[10:11], v[92:93], v[60:61] op_sel:[0,0,1] op_sel_hi:[1,1,0] neg_lo:[0,0,1] neg_hi:[0,0,1]
	v_pk_fma_f32 v[78:79], v[10:11], v[92:93], v[60:61] op_sel:[0,0,1] op_sel_hi:[0,1,0]
	v_pk_fma_f32 v[60:61], v[52:53], v[94:95], v[64:65] op_sel:[0,0,1] op_sel_hi:[1,1,0] neg_lo:[0,0,1] neg_hi:[0,0,1]
	v_pk_fma_f32 v[64:65], v[52:53], v[94:95], v[64:65] op_sel:[0,0,1] op_sel_hi:[0,1,0]
	;; [unrolled: 2-line block ×5, first 2 shown]
	v_pk_mul_f32 v[68:69], v[44:45], v[72:73] op_sel_hi:[1,0]
	v_pk_mul_f32 v[72:73], v[28:29], v[76:77] op_sel_hi:[1,0]
	v_pk_fma_f32 v[70:71], v[32:33], v[16:17], v[74:75] op_sel:[0,0,1] op_sel_hi:[1,1,0] neg_lo:[0,0,1] neg_hi:[0,0,1]
	v_pk_fma_f32 v[32:33], v[32:33], v[16:17], v[74:75] op_sel:[0,0,1] op_sel_hi:[1,0,0]
	v_mov_b32_e32 v59, v79
	v_mov_b32_e32 v61, v65
	;; [unrolled: 1-line block ×5, first 2 shown]
	v_pk_fma_f32 v[64:65], v[44:45], v[22:23], v[68:69] op_sel:[0,0,1] op_sel_hi:[1,1,0] neg_lo:[0,0,1] neg_hi:[0,0,1]
	v_pk_fma_f32 v[44:45], v[44:45], v[22:23], v[68:69] op_sel:[0,0,1] op_sel_hi:[1,0,0]
	v_pk_fma_f32 v[68:69], v[28:29], v[18:19], v[72:73] op_sel:[0,0,1] op_sel_hi:[1,1,0] neg_lo:[0,0,1] neg_hi:[0,0,1]
	v_pk_fma_f32 v[48:49], v[28:29], v[18:19], v[72:73] op_sel:[0,0,1] op_sel_hi:[1,0,0]
	v_mov_b32_e32 v71, v33
	v_pk_add_f32 v[54:55], v[60:61], v[52:53]
	v_pk_add_f32 v[56:57], v[58:59], v[60:61] neg_lo:[0,1] neg_hi:[0,1]
	v_pk_add_f32 v[72:73], v[10:11], v[52:53] neg_lo:[0,1] neg_hi:[0,1]
	v_mov_b32_e32 v65, v45
	v_mov_b32_e32 v69, v49
	v_pk_add_f32 v[44:45], v[12:13], v[66:67]
	v_pk_add_f32 v[32:33], v[58:59], v[10:11] neg_lo:[0,1] neg_hi:[0,1]
	v_pk_fma_f32 v[54:55], v[54:55], 0.5, v[8:9] op_sel_hi:[1,0,1] neg_lo:[1,0,0] neg_hi:[1,0,0]
	v_pk_add_f32 v[48:49], v[56:57], v[72:73]
	v_pk_add_f32 v[72:73], v[44:45], v[64:65]
	;; [unrolled: 1-line block ×3, first 2 shown]
	v_pk_add_f32 v[76:77], v[66:67], v[68:69] neg_lo:[0,1] neg_hi:[0,1]
	v_pk_add_f32 v[28:29], v[60:61], v[52:53] neg_lo:[0,1] neg_hi:[0,1]
	;; [unrolled: 1-line block ×5, first 2 shown]
	v_pk_fma_f32 v[44:45], v[32:33], s[16:17], v[54:55] op_sel:[1,0,0] op_sel_hi:[0,0,1] neg_lo:[1,0,0] neg_hi:[1,0,0]
	v_pk_fma_f32 v[56:57], v[32:33], s[16:17], v[54:55] op_sel:[1,0,0] op_sel_hi:[0,0,1]
	v_pk_add_f32 v[54:55], v[72:73], v[70:71]
	v_pk_fma_f32 v[72:73], v[74:75], 0.5, v[12:13] op_sel_hi:[1,0,1] neg_lo:[1,0,0] neg_hi:[1,0,0]
	v_pk_mul_f32 v[74:75], v[76:77], s[16:17] op_sel_hi:[1,0]
	v_pk_mul_f32 v[104:105], v[78:79], s[18:19] op_sel_hi:[1,0]
	v_pk_add_f32 v[100:101], v[100:101], v[102:103]
	v_pk_fma_f32 v[102:103], v[28:29], s[18:19], v[44:45] op_sel:[1,0,0] op_sel_hi:[0,0,1] neg_lo:[1,0,0] neg_hi:[1,0,0]
	v_pk_fma_f32 v[106:107], v[28:29], s[18:19], v[56:57] op_sel:[1,0,0] op_sel_hi:[0,0,1]
	v_pk_add_f32 v[108:109], v[54:55], v[68:69]
	v_pk_add_f32 v[54:55], v[72:73], v[74:75] op_sel:[0,1] op_sel_hi:[1,0]
	v_pk_add_f32 v[72:73], v[72:73], v[74:75] op_sel:[0,1] op_sel_hi:[1,0] neg_lo:[0,1] neg_hi:[0,1]
	v_mov_b32_e32 v103, v107
	v_pk_add_f32 v[72:73], v[72:73], v[104:105] op_sel:[0,1] op_sel_hi:[1,0] neg_lo:[0,1] neg_hi:[0,1]
	v_pk_add_f32 v[74:75], v[54:55], v[104:105] op_sel:[0,1] op_sel_hi:[1,0]
	v_pk_fma_f32 v[54:55], v[48:49], s[0:1], v[102:103] op_sel_hi:[1,0,1]
	v_mov_b32_e32 v102, v74
	v_mov_b32_e32 v103, v73
	v_pk_fma_f32 v[102:103], v[100:101], s[0:1], v[102:103] op_sel_hi:[1,0,1]
	ds_write2_b64 v169, v[108:109], v[102:103] offset1:34
	v_pk_add_f32 v[102:103], v[66:67], v[68:69]
	v_pk_add_f32 v[64:65], v[64:65], v[66:67] neg_lo:[0,1] neg_hi:[0,1]
	v_pk_add_f32 v[66:67], v[70:71], v[68:69] neg_lo:[0,1] neg_hi:[0,1]
	v_pk_fma_f32 v[12:13], v[102:103], 0.5, v[12:13] op_sel_hi:[1,0,1] neg_lo:[1,0,0] neg_hi:[1,0,0]
	v_pk_add_f32 v[64:65], v[64:65], v[66:67]
	v_pk_mul_f32 v[66:67], v[78:79], s[16:17] op_sel_hi:[1,0]
	v_pk_mul_f32 v[68:69], v[76:77], s[18:19] op_sel_hi:[1,0]
	v_pk_add_f32 v[70:71], v[12:13], v[66:67] op_sel:[0,1] op_sel_hi:[1,0] neg_lo:[0,1] neg_hi:[0,1]
	v_pk_add_f32 v[12:13], v[12:13], v[66:67] op_sel:[0,1] op_sel_hi:[1,0]
	v_pk_add_f32 v[66:67], v[70:71], v[68:69] op_sel:[0,1] op_sel_hi:[1,0]
	v_pk_add_f32 v[12:13], v[12:13], v[68:69] op_sel:[0,1] op_sel_hi:[1,0] neg_lo:[0,1] neg_hi:[0,1]
	v_mov_b32_e32 v68, v66
	v_mov_b32_e32 v69, v13
	;; [unrolled: 1-line block ×3, first 2 shown]
	v_pk_fma_f32 v[68:69], v[64:65], s[0:1], v[68:69] op_sel_hi:[1,0,1]
	v_pk_fma_f32 v[12:13], v[64:65], s[0:1], v[12:13] op_sel_hi:[1,0,1]
	v_mov_b32_e32 v73, v75
	ds_write2_b64 v169, v[68:69], v[12:13] offset0:68 offset1:102
	v_pk_fma_f32 v[12:13], v[100:101], s[0:1], v[72:73] op_sel_hi:[1,0,1]
	ds_write_b64 v169, v[12:13] offset:1088
	s_waitcnt vmcnt(0)
	v_pk_mul_f32 v[12:13], v[50:51], v[40:41] op_sel:[0,1]
	s_nop 0
	v_pk_fma_f32 v[64:65], v[50:51], v[40:41], v[12:13] op_sel:[0,0,1] op_sel_hi:[1,1,0] neg_lo:[0,0,1] neg_hi:[0,0,1]
	v_pk_fma_f32 v[12:13], v[50:51], v[40:41], v[12:13] op_sel:[0,0,1] op_sel_hi:[1,0,0]
	s_nop 0
	v_mov_b32_e32 v12, v43
	v_mov_b32_e32 v65, v13
	v_pk_mul_f32 v[12:13], v[46:47], v[12:13] op_sel_hi:[1,0]
	s_nop 0
	v_pk_fma_f32 v[50:51], v[46:47], v[42:43], v[12:13] op_sel:[0,0,1] op_sel_hi:[1,1,0] neg_lo:[0,0,1] neg_hi:[0,0,1]
	v_pk_fma_f32 v[12:13], v[46:47], v[42:43], v[12:13] op_sel:[0,0,1] op_sel_hi:[1,0,0]
	s_nop 0
	v_mov_b32_e32 v51, v13
	v_pk_mul_f32 v[12:13], v[34:35], v[36:37] op_sel:[0,1]
	v_pk_add_f32 v[74:75], v[64:65], v[50:51] neg_lo:[0,1] neg_hi:[0,1]
	v_pk_fma_f32 v[46:47], v[34:35], v[36:37], v[12:13] op_sel:[0,0,1] op_sel_hi:[1,1,0] neg_lo:[0,0,1] neg_hi:[0,0,1]
	v_pk_fma_f32 v[12:13], v[34:35], v[36:37], v[12:13] op_sel:[0,0,1] op_sel_hi:[1,0,0]
	s_nop 0
	v_mov_b32_e32 v12, v39
	v_mov_b32_e32 v47, v13
	v_pk_mul_f32 v[12:13], v[30:31], v[12:13] op_sel_hi:[1,0]
	v_pk_add_f32 v[70:71], v[50:51], v[46:47] neg_lo:[0,1] neg_hi:[0,1]
	v_pk_fma_f32 v[34:35], v[30:31], v[38:39], v[12:13] op_sel:[0,0,1] op_sel_hi:[1,1,0] neg_lo:[0,0,1] neg_hi:[0,0,1]
	v_pk_fma_f32 v[12:13], v[30:31], v[38:39], v[12:13] op_sel:[0,0,1] op_sel_hi:[1,0,0]
	v_pk_add_f32 v[30:31], v[50:51], v[46:47]
	v_mov_b32_e32 v35, v13
	v_pk_add_f32 v[66:67], v[64:65], v[34:35] neg_lo:[0,1] neg_hi:[0,1]
	v_pk_fma_f32 v[30:31], v[30:31], 0.5, v[14:15] op_sel_hi:[1,0,1] neg_lo:[1,0,0] neg_hi:[1,0,0]
	v_pk_mul_f32 v[68:69], v[66:67], s[16:17] op_sel_hi:[1,0]
	v_pk_add_f32 v[76:77], v[34:35], v[46:47] neg_lo:[0,1] neg_hi:[0,1]
	v_pk_add_f32 v[12:13], v[14:15], v[64:65]
	v_pk_mul_f32 v[72:73], v[70:71], s[18:19] op_sel_hi:[1,0]
	v_pk_add_f32 v[74:75], v[74:75], v[76:77]
	v_pk_add_f32 v[76:77], v[30:31], v[68:69] op_sel:[0,1] op_sel_hi:[1,0]
	v_pk_add_f32 v[30:31], v[30:31], v[68:69] op_sel:[0,1] op_sel_hi:[1,0] neg_lo:[0,1] neg_hi:[0,1]
	v_pk_add_f32 v[12:13], v[12:13], v[50:51]
	v_pk_add_f32 v[30:31], v[30:31], v[72:73] op_sel:[0,1] op_sel_hi:[1,0] neg_lo:[0,1] neg_hi:[0,1]
	v_pk_add_f32 v[68:69], v[76:77], v[72:73] op_sel:[0,1] op_sel_hi:[1,0]
	v_pk_add_f32 v[12:13], v[12:13], v[46:47]
	v_mov_b32_e32 v72, v68
	v_mov_b32_e32 v73, v31
	v_pk_add_f32 v[12:13], v[12:13], v[34:35]
	v_pk_fma_f32 v[72:73], v[74:75], s[0:1], v[72:73] op_sel_hi:[1,0,1]
	ds_write2_b64 v170, v[12:13], v[72:73] offset1:34
	v_pk_add_f32 v[12:13], v[64:65], v[34:35]
	v_pk_add_f32 v[34:35], v[46:47], v[34:35] neg_lo:[0,1] neg_hi:[0,1]
	v_pk_fma_f32 v[12:13], v[12:13], 0.5, v[14:15] op_sel_hi:[1,0,1] neg_lo:[1,0,0] neg_hi:[1,0,0]
	v_pk_add_f32 v[14:15], v[50:51], v[64:65] neg_lo:[0,1] neg_hi:[0,1]
	v_pk_mul_f32 v[46:47], v[66:67], s[18:19] op_sel_hi:[1,0]
	v_pk_add_f32 v[14:15], v[14:15], v[34:35]
	v_pk_mul_f32 v[34:35], v[70:71], s[16:17] op_sel_hi:[1,0]
	v_mov_b32_e32 v31, v69
	v_pk_add_f32 v[50:51], v[12:13], v[34:35] op_sel:[0,1] op_sel_hi:[1,0] neg_lo:[0,1] neg_hi:[0,1]
	v_pk_add_f32 v[12:13], v[12:13], v[34:35] op_sel:[0,1] op_sel_hi:[1,0]
	v_pk_add_f32 v[34:35], v[50:51], v[46:47] op_sel:[0,1] op_sel_hi:[1,0]
	v_pk_add_f32 v[12:13], v[12:13], v[46:47] op_sel:[0,1] op_sel_hi:[1,0] neg_lo:[0,1] neg_hi:[0,1]
	v_mov_b32_e32 v46, v34
	v_mov_b32_e32 v47, v13
	;; [unrolled: 1-line block ×3, first 2 shown]
	v_pk_fma_f32 v[46:47], v[14:15], s[0:1], v[46:47] op_sel_hi:[1,0,1]
	v_pk_fma_f32 v[12:13], v[14:15], s[0:1], v[12:13] op_sel_hi:[1,0,1]
	ds_write2_b64 v170, v[46:47], v[12:13] offset0:68 offset1:102
	v_pk_fma_f32 v[12:13], v[74:75], s[0:1], v[30:31] op_sel_hi:[1,0,1]
	ds_write_b64 v170, v[12:13] offset:1088
	s_and_saveexec_b64 s[20:21], s[2:3]
	s_cbranch_execz .LBB0_11
; %bb.10:
	v_mov_b32_e32 v12, v33
	v_mov_b32_e32 v13, v32
	;; [unrolled: 1-line block ×4, first 2 shown]
	v_pk_mul_f32 v[28:29], v[28:29], s[18:19] op_sel:[1,0] op_sel_hi:[0,0]
	v_pk_mul_f32 v[30:31], v[48:49], s[0:1] op_sel_hi:[1,0]
	s_movk_i32 s1, 0xf1
	v_pk_add_f32 v[32:33], v[8:9], v[58:59]
	v_mul_lo_u16_sdwa v0, v62, s1 dst_sel:DWORD dst_unused:UNUSED_PAD src0_sel:BYTE_0 src1_sel:DWORD
	v_pk_add_f32 v[32:33], v[32:33], v[60:61]
	v_pk_add_f32 v[34:35], v[56:57], v[28:29]
	v_pk_add_f32 v[28:29], v[44:45], v[28:29] neg_lo:[0,1] neg_hi:[0,1]
	v_lshrrev_b16_e32 v0, 13, v0
	v_pk_add_f32 v[32:33], v[32:33], v[52:53]
	v_mov_b32_e32 v35, v29
	v_mul_u32_u24_e32 v0, 0xaa, v0
	v_pk_add_f32 v[32:33], v[32:33], v[10:11]
	v_pk_add_f32 v[28:29], v[30:31], v[34:35]
	v_pk_add_f32 v[30:31], v[52:53], v[10:11] neg_lo:[0,1] neg_hi:[0,1]
	v_pk_add_f32 v[10:11], v[58:59], v[10:11]
	v_add_u32_sdwa v0, v0, v97 dst_sel:DWORD dst_unused:UNUSED_PAD src0_sel:DWORD src1_sel:BYTE_0
	v_pk_fma_f32 v[8:9], -0.5, v[10:11], v[8:9] op_sel_hi:[0,1,1]
	v_add_lshl_u32 v0, v178, v0, 3
	v_pk_fma_f32 v[10:11], v[14:15], s[16:17], v[8:9] op_sel_hi:[1,0,1] neg_lo:[1,0,0] neg_hi:[1,0,0]
	v_pk_fma_f32 v[8:9], v[14:15], s[16:17], v[8:9] op_sel_hi:[1,0,1]
	ds_write2_b64 v0, v[32:33], v[28:29] offset1:34
	v_pk_add_f32 v[28:29], v[60:61], v[58:59] neg_lo:[0,1] neg_hi:[0,1]
	v_pk_fma_f32 v[8:9], v[12:13], s[18:19], v[8:9] op_sel_hi:[1,0,1] neg_lo:[1,0,0] neg_hi:[1,0,0]
	v_pk_fma_f32 v[10:11], v[12:13], s[18:19], v[10:11] op_sel_hi:[1,0,1]
	v_pk_add_f32 v[28:29], v[28:29], v[30:31]
	v_mov_b32_e32 v12, v10
	v_mov_b32_e32 v13, v9
	;; [unrolled: 1-line block ×3, first 2 shown]
	v_pk_fma_f32 v[12:13], v[28:29], s[0:1], v[12:13] op_sel_hi:[1,0,1]
	v_pk_fma_f32 v[8:9], v[28:29], s[0:1], v[8:9] op_sel_hi:[1,0,1]
	ds_write2_b64 v0, v[12:13], v[8:9] offset0:68 offset1:102
	ds_write_b64 v0, v[54:55] offset:1088
.LBB0_11:
	s_or_b64 exec, exec, s[20:21]
	v_mad_u64_u32 v[8:9], s[0:1], v82, 48, s[6:7]
	s_movk_i32 s16, 0x1000
	s_mov_b64 s[0:1], 0x14b8
	s_waitcnt lgkmcnt(0)
	s_barrier
	global_load_dwordx4 v[44:47], v[8:9], off offset:1240
	global_load_dwordx4 v[32:35], v[8:9], off offset:1224
	v_lshl_add_u64 v[52:53], v[8:9], 0, s[0:1]
	global_load_dwordx4 v[28:31], v[8:9], off offset:1256
	global_load_dwordx4 v[48:51], v[52:53], off offset:16
	v_add_co_u32_e32 v56, vcc, s16, v8
	v_add_u32_e32 v0, 0xc00, v83
	s_nop 0
	v_addc_co_u32_e32 v57, vcc, 0, v9, vcc
	global_load_dwordx4 v[12:15], v[56:57], off offset:1208
	global_load_dwordx4 v[8:11], v[52:53], off offset:32
	ds_read2_b64 v[56:59], v83 offset0:170 offset1:255
	v_add_u32_e32 v1, 0x1000, v83
	v_add_u32_e32 v2, 0x1c00, v83
	;; [unrolled: 1-line block ×4, first 2 shown]
	ds_read2_b64 v[66:69], v83 offset1:85
	ds_read2_b64 v[60:63], v0 offset0:126 offset1:211
	ds_read2_b64 v[70:73], v1 offset0:168 offset1:253
	;; [unrolled: 1-line block ×5, first 2 shown]
	s_mov_b32 s18, 0x3f4a47b2
	s_mov_b32 s24, 0x3d64c772
	;; [unrolled: 1-line block ×8, first 2 shown]
	v_lshl_add_u32 v244, v82, 3, v179
	s_waitcnt vmcnt(5) lgkmcnt(4)
	v_pk_mul_f32 v[52:53], v[60:61], v[44:45] op_sel:[0,1]
	v_mov_b32_e32 v64, v47
	s_waitcnt vmcnt(4)
	v_pk_mul_f32 v[78:79], v[56:57], v[32:33] op_sel:[0,1]
	v_mov_b32_e32 v108, v35
	s_waitcnt vmcnt(3) lgkmcnt(0)
	v_pk_mul_f32 v[110:111], v[104:105], v[28:29] op_sel:[0,1]
	v_mov_b32_e32 v112, v31
	s_waitcnt vmcnt(2)
	v_mul_f32_e32 v109, v62, v49
	v_mul_f32_e32 v113, v72, v51
	;; [unrolled: 1-line block ×3, first 2 shown]
	s_waitcnt vmcnt(1)
	v_mul_f32_e32 v2, v59, v13
	v_mul_f32_e32 v114, v58, v13
	v_pk_fma_f32 v[122:123], v[60:61], v[44:45], v[52:53] op_sel:[0,0,1] op_sel_hi:[1,1,0] neg_lo:[0,0,1] neg_hi:[0,0,1]
	v_pk_fma_f32 v[52:53], v[60:61], v[44:45], v[52:53] op_sel:[0,0,1] op_sel_hi:[1,0,0]
	v_pk_mul_f32 v[60:61], v[70:71], v[64:65] op_sel_hi:[1,0]
	v_pk_fma_f32 v[64:65], v[56:57], v[32:33], v[78:79] op_sel:[0,0,1] op_sel_hi:[1,1,0] neg_lo:[0,0,1] neg_hi:[0,0,1]
	v_pk_fma_f32 v[56:57], v[56:57], v[32:33], v[78:79] op_sel:[0,0,1] op_sel_hi:[1,0,0]
	v_pk_mul_f32 v[78:79], v[100:101], v[108:109] op_sel_hi:[1,0]
	v_pk_fma_f32 v[124:125], v[104:105], v[28:29], v[110:111] op_sel:[0,0,1] op_sel_hi:[1,1,0] neg_lo:[0,0,1] neg_hi:[0,0,1]
	v_pk_fma_f32 v[104:105], v[104:105], v[28:29], v[110:111] op_sel:[0,0,1] op_sel_hi:[1,0,0]
	v_pk_mul_f32 v[110:111], v[74:75], v[112:113] op_sel_hi:[1,0]
	v_fma_f32 v52, v62, v48, -v0
	v_fmac_f32_e32 v109, v63, v48
	v_fma_f32 v115, v58, v12, -v2
	v_fmac_f32_e32 v114, v59, v12
	v_pk_fma_f32 v[58:59], v[70:71], v[46:47], v[60:61] op_sel:[0,0,1] op_sel_hi:[1,1,0] neg_lo:[0,0,1] neg_hi:[0,0,1]
	v_pk_fma_f32 v[60:61], v[70:71], v[46:47], v[60:61] op_sel:[0,0,1] op_sel_hi:[1,0,0]
	v_mov_b32_e32 v65, v57
	v_pk_fma_f32 v[56:57], v[100:101], v[34:35], v[78:79] op_sel:[0,0,1] op_sel_hi:[1,1,0] neg_lo:[0,0,1] neg_hi:[0,0,1]
	v_pk_fma_f32 v[62:63], v[100:101], v[34:35], v[78:79] op_sel:[0,0,1] op_sel_hi:[1,0,0]
	v_pk_fma_f32 v[70:71], v[74:75], v[30:31], v[110:111] op_sel:[0,0,1] op_sel_hi:[1,1,0] neg_lo:[0,0,1] neg_hi:[0,0,1]
	v_pk_fma_f32 v[74:75], v[74:75], v[30:31], v[110:111] op_sel:[0,0,1] op_sel_hi:[1,0,0]
	v_mov_b32_e32 v123, v53
	v_mov_b32_e32 v125, v105
	;; [unrolled: 1-line block ×5, first 2 shown]
	v_pk_add_f32 v[60:61], v[64:65], v[70:71]
	v_pk_add_f32 v[62:63], v[64:65], v[70:71] neg_lo:[0,1] neg_hi:[0,1]
	v_pk_add_f32 v[64:65], v[56:57], v[124:125]
	v_pk_add_f32 v[56:57], v[56:57], v[124:125] neg_lo:[0,1] neg_hi:[0,1]
	;; [unrolled: 2-line block ×3, first 2 shown]
	v_mul_f32_e32 v3, v103, v15
	v_mul_f32_e32 v116, v102, v15
	s_waitcnt vmcnt(0)
	v_mul_f32_e32 v5, v77, v11
	v_mul_f32_e32 v120, v76, v11
	v_pk_add_f32 v[74:75], v[64:65], v[60:61]
	v_pk_add_f32 v[78:79], v[58:59], v[56:57] op_sel:[1,1] op_sel_hi:[0,0]
	v_fma_f32 v117, v102, v14, -v3
	v_fmac_f32_e32 v116, v103, v14
	v_fma_f32 v121, v76, v10, -v5
	v_fmac_f32_e32 v120, v77, v10
	v_pk_add_f32 v[76:77], v[64:65], v[60:61] neg_lo:[0,1] neg_hi:[0,1]
	v_pk_add_f32 v[60:61], v[60:61], v[70:71] neg_lo:[0,1] neg_hi:[0,1]
	;; [unrolled: 1-line block ×3, first 2 shown]
	v_pk_add_f32 v[102:103], v[58:59], v[56:57] op_sel:[1,1] op_sel_hi:[0,0] neg_lo:[0,1] neg_hi:[0,1]
	v_pk_add_f32 v[58:59], v[62:63], v[58:59] op_sel:[1,1] op_sel_hi:[0,0] neg_lo:[0,1] neg_hi:[0,1]
	;; [unrolled: 1-line block ×3, first 2 shown]
	v_pk_add_f32 v[62:63], v[78:79], v[62:63] op_sel:[0,1] op_sel_hi:[1,0]
	v_mov_b32_e32 v78, v74
	v_mov_b32_e32 v79, v71
	;; [unrolled: 1-line block ×3, first 2 shown]
	v_pk_add_f32 v[70:71], v[78:79], v[70:71]
	v_mul_f32_e32 v118, v106, v9
	v_pk_add_f32 v[100:101], v[66:67], v[70:71]
	v_pk_mul_f32 v[66:67], v[60:61], s[18:19] op_sel_hi:[1,0]
	v_pk_mul_f32 v[64:65], v[64:65], s[24:25] op_sel_hi:[1,0]
	;; [unrolled: 1-line block ×4, first 2 shown]
	v_mul_f32_e32 v1, v73, v51
	v_fmac_f32_e32 v118, v107, v8
	v_pk_fma_f32 v[70:71], v[70:71], s[6:7], v[100:101] op_sel_hi:[1,0,1] neg_lo:[1,0,0] neg_hi:[1,0,0]
	v_pk_fma_f32 v[60:61], v[60:61], s[18:19], v[64:65] op_sel_hi:[1,0,1]
	v_pk_fma_f32 v[64:65], v[76:77], s[16:17], v[64:65] op_sel_hi:[1,0,1] neg_lo:[0,0,1] neg_hi:[0,0,1]
	v_pk_fma_f32 v[66:67], v[76:77], s[16:17], v[66:67] op_sel_hi:[1,0,1] neg_lo:[1,0,1] neg_hi:[1,0,1]
	v_pk_fma_f32 v[76:77], v[58:59], s[22:23], v[74:75] op_sel_hi:[1,0,1]
	v_pk_fma_f32 v[56:57], v[56:57], s[20:21], v[74:75] op_sel_hi:[1,0,1] neg_lo:[0,0,1] neg_hi:[0,0,1]
	v_pk_fma_f32 v[58:59], v[58:59], s[22:23], v[78:79] op_sel_hi:[1,0,1] neg_lo:[1,0,1] neg_hi:[1,0,1]
	v_mul_f32_e32 v4, v107, v9
	v_fma_f32 v72, v72, v50, -v1
	v_fmac_f32_e32 v113, v73, v50
	v_pk_add_f32 v[60:61], v[60:61], v[70:71]
	v_pk_add_f32 v[64:65], v[64:65], v[70:71]
	;; [unrolled: 1-line block ×3, first 2 shown]
	v_pk_fma_f32 v[70:71], v[62:63], s[0:1], v[76:77] op_sel_hi:[1,0,1]
	v_pk_fma_f32 v[74:75], v[62:63], s[0:1], v[56:57] op_sel_hi:[1,0,1]
	;; [unrolled: 1-line block ×3, first 2 shown]
	v_mov_b32_e32 v53, v116
	v_mov_b32_e32 v73, v118
	;; [unrolled: 1-line block ×4, first 2 shown]
	v_fma_f32 v119, v106, v8, -v4
	v_pk_add_f32 v[76:77], v[60:61], v[70:71]
	v_pk_add_f32 v[62:63], v[60:61], v[70:71] neg_lo:[0,1] neg_hi:[0,1]
	v_pk_add_f32 v[70:71], v[66:67], v[58:59]
	v_pk_add_f32 v[60:61], v[66:67], v[58:59] neg_lo:[0,1] neg_hi:[0,1]
	v_pk_add_f32 v[78:79], v[64:65], v[74:75] neg_lo:[0,1] neg_hi:[0,1]
	v_pk_add_f32 v[66:67], v[64:65], v[74:75]
	v_pk_add_f32 v[102:103], v[52:53], v[72:73]
	;; [unrolled: 1-line block ×3, first 2 shown]
	v_mov_b32_e32 v106, v113
	v_mov_b32_e32 v107, v72
	;; [unrolled: 1-line block ×13, first 2 shown]
	v_add_f32_e32 v71, v114, v120
	v_add_f32_e32 v74, v117, v119
	v_pk_add_f32 v[76:77], v[114:115], v[120:121] neg_lo:[0,1] neg_hi:[0,1]
	v_pk_add_f32 v[78:79], v[116:117], v[118:119] neg_lo:[0,1] neg_hi:[0,1]
	;; [unrolled: 1-line block ×3, first 2 shown]
	v_mov_b32_e32 v75, v103
	v_mov_b32_e32 v70, v104
	v_add_f32_e32 v0, v103, v71
	v_pk_add_f32 v[106:107], v[74:75], v[70:71] neg_lo:[0,1] neg_hi:[0,1]
	v_mov_b32_e32 v70, v102
	v_mov_b32_e32 v75, v105
	;; [unrolled: 1-line block ×6, first 2 shown]
	v_add_f32_e32 v72, v74, v104
	v_pk_add_f32 v[70:71], v[70:71], v[74:75] neg_lo:[0,1] neg_hi:[0,1]
	v_pk_add_f32 v[74:75], v[104:105], v[102:103] neg_lo:[0,1] neg_hi:[0,1]
	v_pk_add_f32 v[108:109], v[52:53], v[78:79]
	v_pk_add_f32 v[110:111], v[110:111], v[112:113] neg_lo:[0,1] neg_hi:[0,1]
	v_mov_b32_e32 v112, v76
	v_mov_b32_e32 v53, v79
	;; [unrolled: 1-line block ×4, first 2 shown]
	s_mov_b32 s25, s18
	s_mov_b32 s19, s24
	v_pk_add_f32 v[52:53], v[112:113], v[52:53] neg_lo:[0,1] neg_hi:[0,1]
	v_pk_add_f32 v[72:73], v[72:73], v[102:103]
	v_pk_mul_f32 v[70:71], v[70:71], s[24:25]
	v_pk_mul_f32 v[102:103], v[74:75], s[18:19]
	s_mov_b32 s23, s26
	s_mov_b32 s27, s22
	v_pk_add_f32 v[78:79], v[78:79], v[76:77] neg_lo:[0,1] neg_hi:[0,1]
	v_pk_add_f32 v[76:77], v[108:109], v[76:77]
	v_pk_mul_f32 v[104:105], v[52:53], s[22:23]
	v_pk_mul_f32 v[108:109], v[110:111], s[26:27]
	v_mov_b32_e32 v111, v103
	v_mov_b32_e32 v103, v71
	v_pk_add_f32 v[68:69], v[68:69], v[72:73]
	v_pk_fma_f32 v[74:75], v[74:75], s[18:19], v[70:71]
	v_mov_b32_e32 v110, v70
	v_pk_fma_f32 v[70:71], v[106:107], s[16:17], v[102:103] op_sel_hi:[1,0,1] neg_lo:[1,0,1] neg_hi:[1,0,1]
	v_mov_b32_e32 v102, v108
	v_mov_b32_e32 v103, v105
	;; [unrolled: 1-line block ×3, first 2 shown]
	v_pk_fma_f32 v[72:73], v[72:73], s[6:7], v[68:69] op_sel_hi:[1,0,1] neg_lo:[1,0,0] neg_hi:[1,0,0]
	v_pk_fma_f32 v[110:111], v[106:107], s[16:17], v[110:111] op_sel_hi:[1,0,1] neg_lo:[0,0,1] neg_hi:[0,0,1]
	;; [unrolled: 1-line block ×4, first 2 shown]
	v_pk_fma_f32 v[52:53], v[52:53], s[22:23], v[108:109]
	v_pk_add_f32 v[104:105], v[74:75], v[72:73]
	v_pk_add_f32 v[74:75], v[110:111], v[72:73]
	;; [unrolled: 1-line block ×3, first 2 shown]
	v_pk_fma_f32 v[102:103], v[76:77], s[0:1], v[102:103] op_sel_hi:[1,0,1]
	v_pk_fma_f32 v[72:73], v[76:77], s[0:1], v[78:79] op_sel_hi:[1,0,1]
	;; [unrolled: 1-line block ×3, first 2 shown]
	v_pk_add_f32 v[106:107], v[70:71], v[72:73]
	v_pk_add_f32 v[78:79], v[70:71], v[72:73] neg_lo:[0,1] neg_hi:[0,1]
	v_pk_add_f32 v[70:71], v[74:75], v[102:103] neg_lo:[0,1] neg_hi:[0,1]
	v_pk_add_f32 v[76:77], v[74:75], v[102:103]
	v_mov_b32_e32 v74, v70
	v_mov_b32_e32 v75, v77
	;; [unrolled: 1-line block ×3, first 2 shown]
	v_pk_add_f32 v[102:103], v[104:105], v[52:53] neg_lo:[0,1] neg_hi:[0,1]
	v_pk_add_f32 v[70:71], v[104:105], v[52:53]
	v_mov_b32_e32 v72, v106
	v_mov_b32_e32 v73, v79
	;; [unrolled: 1-line block ×6, first 2 shown]
	v_add_u32_e32 v105, 0x400, v244
	v_add_u32_e32 v104, 0x800, v244
	;; [unrolled: 1-line block ×5, first 2 shown]
	ds_write_b64 v244, v[100:101]
	ds_write2_b64 v244, v[68:69], v[56:57] offset0:85 offset1:170
	ds_write2_b64 v105, v[70:71], v[58:59] offset0:127 offset1:212
	;; [unrolled: 1-line block ×6, first 2 shown]
	ds_write_b64 v244, v[52:53] offset:8840
	s_waitcnt lgkmcnt(0)
	s_barrier
	s_and_saveexec_b64 s[0:1], s[4:5]
	s_cbranch_execz .LBB0_13
; %bb.12:
	v_mov_b32_e32 v213, 0
	v_lshl_add_u64 v[110:111], s[12:13], 0, v[212:213]
	v_add_co_u32_e32 v108, vcc, 0x2000, v110
	ds_read_b64 v[106:107], v244
	s_nop 0
	v_addc_co_u32_e32 v109, vcc, 0, v111, vcc
	global_load_dwordx2 v[108:109], v[108:109], off offset:1328
	s_mov_b64 s[6:7], 0x2530
	v_lshl_add_u64 v[112:113], v[110:111], 0, s[6:7]
	s_movk_i32 s6, 0x3000
	s_waitcnt vmcnt(0) lgkmcnt(0)
	v_mul_f32_e32 v0, v107, v109
	v_mul_f32_e32 v115, v106, v109
	v_fma_f32 v114, v106, v108, -v0
	v_fmac_f32_e32 v115, v107, v108
	ds_write_b64 v244, v[114:115]
	global_load_dwordx2 v[114:115], v[112:113], off offset:560
	ds_read2_b64 v[106:109], v244 offset0:70 offset1:140
	s_waitcnt vmcnt(0) lgkmcnt(0)
	v_mul_f32_e32 v0, v107, v115
	v_mul_f32_e32 v117, v106, v115
	v_fma_f32 v116, v106, v114, -v0
	v_fmac_f32_e32 v117, v107, v114
	global_load_dwordx2 v[106:107], v[112:113], off offset:1120
	s_waitcnt vmcnt(0)
	v_mul_f32_e32 v0, v109, v107
	v_mul_f32_e32 v115, v108, v107
	v_fma_f32 v114, v108, v106, -v0
	v_fmac_f32_e32 v115, v109, v106
	ds_write2_b64 v244, v[116:117], v[114:115] offset0:70 offset1:140
	global_load_dwordx2 v[114:115], v[112:113], off offset:1680
	ds_read2_b64 v[106:109], v105 offset0:82 offset1:152
	s_waitcnt vmcnt(0) lgkmcnt(0)
	v_mul_f32_e32 v0, v107, v115
	v_mul_f32_e32 v117, v106, v115
	v_fma_f32 v116, v106, v114, -v0
	v_fmac_f32_e32 v117, v107, v114
	global_load_dwordx2 v[106:107], v[112:113], off offset:2240
	s_waitcnt vmcnt(0)
	v_mul_f32_e32 v0, v109, v107
	v_mul_f32_e32 v115, v108, v107
	v_fma_f32 v114, v108, v106, -v0
	v_fmac_f32_e32 v115, v109, v106
	ds_write2_b64 v105, v[116:117], v[114:115] offset0:82 offset1:152
	global_load_dwordx2 v[114:115], v[112:113], off offset:2800
	ds_read2_b64 v[106:109], v104 offset0:94 offset1:164
	s_waitcnt vmcnt(0) lgkmcnt(0)
	v_mul_f32_e32 v0, v107, v115
	v_mul_f32_e32 v117, v106, v115
	v_fma_f32 v116, v106, v114, -v0
	v_fmac_f32_e32 v117, v107, v114
	global_load_dwordx2 v[106:107], v[112:113], off offset:3360
	s_waitcnt vmcnt(0)
	v_mul_f32_e32 v0, v109, v107
	v_mul_f32_e32 v115, v108, v107
	v_fma_f32 v114, v108, v106, -v0
	v_fmac_f32_e32 v115, v109, v106
	global_load_dwordx2 v[108:109], v[112:113], off offset:3920
	v_add_u32_e32 v0, 0xc00, v244
	ds_write2_b64 v104, v[116:117], v[114:115] offset0:94 offset1:164
	ds_read2_b64 v[104:107], v0 offset0:106 offset1:176
	s_waitcnt vmcnt(0) lgkmcnt(0)
	v_mul_f32_e32 v1, v105, v109
	v_mul_f32_e32 v113, v104, v109
	v_fma_f32 v112, v104, v108, -v1
	v_fmac_f32_e32 v113, v105, v108
	v_add_co_u32_e32 v108, vcc, s6, v110
	s_movk_i32 s6, 0x4000
	s_nop 0
	v_addc_co_u32_e32 v109, vcc, 0, v111, vcc
	global_load_dwordx2 v[104:105], v[108:109], off offset:1712
	s_waitcnt vmcnt(0)
	v_mul_f32_e32 v1, v107, v105
	v_mul_f32_e32 v115, v106, v105
	v_fma_f32 v114, v106, v104, -v1
	v_fmac_f32_e32 v115, v107, v104
	ds_write2_b64 v0, v[112:113], v[114:115] offset0:106 offset1:176
	global_load_dwordx2 v[112:113], v[108:109], off offset:2272
	ds_read2_b64 v[104:107], v103 offset0:118 offset1:188
	s_waitcnt vmcnt(0) lgkmcnt(0)
	v_mul_f32_e32 v0, v105, v113
	v_mul_f32_e32 v115, v104, v113
	v_fma_f32 v114, v104, v112, -v0
	v_fmac_f32_e32 v115, v105, v112
	global_load_dwordx2 v[104:105], v[108:109], off offset:2832
	s_waitcnt vmcnt(0)
	v_mul_f32_e32 v0, v107, v105
	v_mul_f32_e32 v113, v106, v105
	v_fma_f32 v112, v106, v104, -v0
	v_fmac_f32_e32 v113, v107, v104
	ds_write2_b64 v103, v[114:115], v[112:113] offset0:118 offset1:188
	global_load_dwordx2 v[112:113], v[108:109], off offset:3392
	ds_read2_b64 v[104:107], v102 offset0:2 offset1:72
	s_waitcnt vmcnt(0) lgkmcnt(0)
	v_mul_f32_e32 v0, v105, v113
	v_mul_f32_e32 v115, v104, v113
	v_fma_f32 v114, v104, v112, -v0
	v_fmac_f32_e32 v115, v105, v112
	global_load_dwordx2 v[104:105], v[108:109], off offset:3952
	s_waitcnt vmcnt(0)
	v_mul_f32_e32 v0, v107, v105
	v_mul_f32_e32 v109, v106, v105
	v_fma_f32 v108, v106, v104, -v0
	v_fmac_f32_e32 v109, v107, v104
	ds_write2_b64 v102, v[114:115], v[108:109] offset0:2 offset1:72
	v_add_co_u32_e32 v108, vcc, s6, v110
	ds_read2_b64 v[104:107], v102 offset0:142 offset1:212
	s_nop 0
	v_addc_co_u32_e32 v109, vcc, 0, v111, vcc
	global_load_dwordx2 v[110:111], v[108:109], off offset:416
	s_waitcnt vmcnt(0) lgkmcnt(0)
	v_mul_f32_e32 v0, v105, v111
	v_mul_f32_e32 v113, v104, v111
	v_fma_f32 v112, v104, v110, -v0
	v_fmac_f32_e32 v113, v105, v110
	global_load_dwordx2 v[104:105], v[108:109], off offset:976
	s_waitcnt vmcnt(0)
	v_mul_f32_e32 v0, v107, v105
	v_mul_f32_e32 v111, v106, v105
	v_fma_f32 v110, v106, v104, -v0
	v_fmac_f32_e32 v111, v107, v104
	global_load_dwordx2 v[106:107], v[108:109], off offset:1536
	v_add_u32_e32 v0, 0x2000, v244
	ds_write2_b64 v102, v[112:113], v[110:111] offset0:142 offset1:212
	ds_read2_b64 v[102:105], v0 offset0:26 offset1:96
	s_waitcnt vmcnt(0) lgkmcnt(0)
	v_mul_f32_e32 v1, v103, v107
	v_mul_f32_e32 v111, v102, v107
	v_fma_f32 v110, v102, v106, -v1
	v_fmac_f32_e32 v111, v103, v106
	global_load_dwordx2 v[102:103], v[108:109], off offset:2096
	s_waitcnt vmcnt(0)
	v_mul_f32_e32 v1, v105, v103
	v_mul_f32_e32 v107, v104, v103
	v_fma_f32 v106, v104, v102, -v1
	v_fmac_f32_e32 v107, v105, v102
	ds_write2_b64 v0, v[110:111], v[106:107] offset0:26 offset1:96
.LBB0_13:
	s_or_b64 exec, exec, s[0:1]
	s_waitcnt lgkmcnt(0)
	s_barrier
	s_and_saveexec_b64 s[0:1], s[4:5]
	s_cbranch_execz .LBB0_15
; %bb.14:
	v_add_u32_e32 v0, 0x400, v244
	ds_read_b64 v[100:101], v244
	ds_read2_b64 v[56:59], v244 offset0:70 offset1:140
	ds_read2_b64 v[64:67], v0 offset0:82 offset1:152
	v_add_u32_e32 v0, 0x800, v244
	ds_read2_b64 v[60:63], v0 offset0:94 offset1:164
	v_add_u32_e32 v0, 0xc00, v244
	;; [unrolled: 2-line block ×4, first 2 shown]
	v_add_u32_e32 v1, 0x2000, v244
	ds_read2_b64 v[76:79], v0 offset0:2 offset1:72
	ds_read2_b64 v[24:27], v1 offset0:26 offset1:96
	;; [unrolled: 1-line block ×3, first 2 shown]
.LBB0_15:
	s_or_b64 exec, exec, s[0:1]
	s_waitcnt lgkmcnt(1)
	v_pk_add_f32 v[102:103], v[58:59], v[24:25] neg_lo:[0,1] neg_hi:[0,1]
	v_pk_add_f32 v[134:135], v[58:59], v[24:25]
	v_mov_b32_e32 v117, v102
	v_mov_b32_e32 v116, v134
	;; [unrolled: 1-line block ×3, first 2 shown]
	s_waitcnt lgkmcnt(0)
	v_pk_add_f32 v[102:103], v[64:65], v[54:55] neg_lo:[0,1] neg_hi:[0,1]
	v_pk_add_f32 v[136:137], v[64:65], v[54:55]
	v_mov_b32_e32 v119, v102
	v_mov_b32_e32 v118, v136
	v_mov_b32_e32 v136, v103
	v_pk_add_f32 v[102:103], v[66:67], v[52:53] neg_lo:[0,1] neg_hi:[0,1]
	v_pk_add_f32 v[138:139], v[66:67], v[52:53]
	v_mov_b32_e32 v121, v102
	v_mov_b32_e32 v120, v138
	v_mov_b32_e32 v138, v103
	v_pk_add_f32 v[102:103], v[60:61], v[78:79] neg_lo:[0,1] neg_hi:[0,1]
	v_pk_add_f32 v[140:141], v[60:61], v[78:79]
	v_mov_b32_e32 v123, v102
	v_mov_b32_e32 v122, v140
	v_mov_b32_e32 v140, v103
	v_pk_add_f32 v[102:103], v[62:63], v[76:77] neg_lo:[0,1] neg_hi:[0,1]
	v_pk_add_f32 v[142:143], v[62:63], v[76:77]
	v_mov_b32_e32 v125, v102
	v_mov_b32_e32 v124, v142
	v_mov_b32_e32 v142, v103
	v_pk_add_f32 v[102:103], v[68:69], v[74:75] neg_lo:[0,1] neg_hi:[0,1]
	v_pk_add_f32 v[144:145], v[68:69], v[74:75]
	v_pk_add_f32 v[130:131], v[26:27], v[56:57]
	v_pk_add_f32 v[132:133], v[56:57], v[26:27] neg_lo:[0,1] neg_hi:[0,1]
	v_mov_b32_e32 v126, v144
	v_mov_b32_e32 v127, v102
	;; [unrolled: 1-line block ×3, first 2 shown]
	v_pk_add_f32 v[102:103], v[70:71], v[72:73] neg_lo:[0,1] neg_hi:[0,1]
	v_pk_add_f32 v[154:155], v[70:71], v[72:73]
	s_mov_b32 s56, 0xbf65296c
	v_mov_b32_e32 v128, v154
	v_mov_b32_e32 v129, v102
	;; [unrolled: 1-line block ×5, first 2 shown]
	s_mov_b32 s57, 0x3ee437d1
	s_mov_b32 s42, 0xbf4c4adb
	v_pk_mul_f32 v[180:181], v[102:103], s[56:57]
	v_mov_b32_e32 v146, v130
	v_mov_b32_e32 v147, v132
	s_mov_b32 s0, s57
	s_mov_b32 s1, s56
	;; [unrolled: 1-line block ×3, first 2 shown]
	v_pk_fma_f32 v[102:103], v[146:147], s[0:1], v[180:181] neg_lo:[0,0,1] neg_hi:[0,0,1]
	v_pk_fma_f32 v[182:183], v[146:147], s[0:1], v[180:181]
	v_pk_mul_f32 v[184:185], v[134:135], s[42:43]
	s_mov_b32 s16, s43
	s_mov_b32 s17, s42
	;; [unrolled: 1-line block ×3, first 2 shown]
	v_mov_b32_e32 v103, v183
	v_pk_fma_f32 v[148:149], v[116:117], s[16:17], v[184:185] neg_lo:[0,0,1] neg_hi:[0,0,1]
	v_pk_fma_f32 v[186:187], v[116:117], s[16:17], v[184:185]
	s_mov_b32 s18, 0x3e3c28d5
	s_mov_b32 s19, s6
	v_pk_add_f32 v[102:103], v[100:101], v[102:103]
	v_mov_b32_e32 v149, v187
	v_pk_mul_f32 v[188:189], v[136:137], s[18:19]
	s_mov_b32 s7, s18
	s_mov_b32 s54, 0x3f763a35
	v_pk_add_f32 v[102:103], v[148:149], v[102:103]
	v_pk_fma_f32 v[148:149], v[118:119], s[6:7], v[188:189] neg_lo:[0,0,1] neg_hi:[0,0,1]
	v_pk_fma_f32 v[190:191], v[118:119], s[6:7], v[188:189]
	s_mov_b32 s55, 0xbe8c1d8e
	v_mov_b32_e32 v149, v191
	v_pk_mul_f32 v[192:193], v[138:139], s[54:55]
	s_mov_b32 s18, s55
	s_mov_b32 s19, s54
	s_mov_b32 s44, 0x3f2c7751
	v_pk_add_f32 v[102:103], v[148:149], v[102:103]
	v_pk_fma_f32 v[148:149], v[120:121], s[18:19], v[192:193] neg_lo:[0,0,1] neg_hi:[0,0,1]
	v_pk_fma_f32 v[194:195], v[120:121], s[18:19], v[192:193]
	s_mov_b32 s45, 0x3f3d2fb0
	v_mov_b32_e32 v149, v195
	v_pk_mul_f32 v[196:197], v[140:141], s[44:45]
	s_mov_b32 s26, s45
	s_mov_b32 s27, s44
	s_mov_b32 s48, 0xbeb8f4ab
	v_pk_add_f32 v[102:103], v[148:149], v[102:103]
	v_pk_fma_f32 v[148:149], v[122:123], s[26:27], v[196:197] neg_lo:[0,0,1] neg_hi:[0,0,1]
	v_pk_fma_f32 v[198:199], v[122:123], s[26:27], v[196:197]
	s_mov_b32 s49, 0x3f6eb680
	v_mov_b32_e32 v149, v199
	v_pk_mul_f32 v[200:201], v[142:143], s[48:49]
	s_mov_b32 s34, s49
	s_mov_b32 s35, s48
	s_mov_b32 s50, 0xbf7ee86f
	v_pk_add_f32 v[102:103], v[148:149], v[102:103]
	v_pk_fma_f32 v[148:149], v[124:125], s[34:35], v[200:201] neg_lo:[0,0,1] neg_hi:[0,0,1]
	v_pk_fma_f32 v[202:203], v[124:125], s[34:35], v[200:201]
	s_mov_b32 s51, 0x3dbcf732
	v_mov_b32_e32 v149, v203
	v_pk_mul_f32 v[204:205], v[144:145], s[50:51]
	s_mov_b32 s20, s51
	s_mov_b32 s21, s50
	s_mov_b32 s46, 0xbf06c442
	v_pk_add_f32 v[102:103], v[148:149], v[102:103]
	v_pk_fma_f32 v[148:149], v[126:127], s[20:21], v[204:205] neg_lo:[0,0,1] neg_hi:[0,0,1]
	v_pk_fma_f32 v[206:207], v[126:127], s[20:21], v[204:205]
	s_mov_b32 s47, 0xbf59a7d5
	v_mov_b32_e32 v149, v207
	v_pk_mul_f32 v[208:209], v[154:155], s[46:47]
	s_mov_b32 s24, s47
	s_mov_b32 s25, s46
	v_pk_add_f32 v[102:103], v[148:149], v[102:103]
	v_pk_fma_f32 v[148:149], v[128:129], s[24:25], v[208:209] neg_lo:[0,0,1] neg_hi:[0,0,1]
	v_pk_fma_f32 v[210:211], v[128:129], s[24:25], v[208:209]
	v_mov_b32_e32 v114, v160
	v_mov_b32_e32 v149, v211
	;; [unrolled: 1-line block ×19, first 2 shown]
	v_pk_add_f32 v[102:103], v[148:149], v[102:103]
	s_barrier
	s_and_saveexec_b64 s[22:23], s[4:5]
	s_cbranch_execz .LBB0_17
; %bb.16:
	v_pk_add_f32 v[56:57], v[56:57], v[100:101]
	v_accvgpr_write_b32 a0, v212
	v_pk_add_f32 v[56:57], v[58:59], v[56:57]
	v_pk_mul_f32 v[212:213], v[146:147], s[0:1]
	v_pk_add_f32 v[56:57], v[64:65], v[56:57]
	s_mov_b32 s28, s49
	v_pk_add_f32 v[56:57], v[66:67], v[56:57]
	v_pk_mul_f32 v[146:147], v[132:133], s[48:49] op_sel_hi:[1,0]
	v_pk_add_f32 v[56:57], v[60:61], v[56:57]
	v_pk_fma_f32 v[2:3], v[130:131], s[28:29], v[146:147] op_sel:[0,0,1] op_sel_hi:[1,0,0] neg_lo:[0,0,1] neg_hi:[0,0,1]
	v_pk_add_f32 v[56:57], v[62:63], v[56:57]
	s_mov_b32 s65, s45
	v_pk_add_f32 v[56:57], v[68:69], v[56:57]
	v_accvgpr_write_b32 a34, v2
	v_pk_add_f32 v[56:57], v[70:71], v[56:57]
	s_mov_b32 s31, 0xbf763a35
	v_pk_add_f32 v[56:57], v[72:73], v[56:57]
	s_mov_b32 s58, s31
	;; [unrolled: 2-line block ×4, first 2 shown]
	v_pk_add_f32 v[56:57], v[78:79], v[56:57]
	v_accvgpr_write_b32 a32, v102
	v_pk_add_f32 v[52:53], v[52:53], v[56:57]
	v_accvgpr_write_b32 a33, v103
	v_pk_add_f32 v[52:53], v[54:55], v[52:53]
	v_pk_mul_f32 v[102:103], v[118:119], s[6:7]
	v_pk_add_f32 v[24:25], v[24:25], v[52:53]
	v_pk_fma_f32 v[52:53], v[130:131], s[28:29], v[146:147] op_sel:[0,0,1] op_sel_hi:[1,0,0]
	s_mov_b32 s29, 0xbf2c7751
	s_mov_b32 s64, s29
	v_pk_mul_f32 v[4:5], v[134:135], s[64:65]
	s_mov_b32 s28, s45
	v_accvgpr_write_b32 a39, v5
	v_accvgpr_write_b32 a31, v53
	v_mov_b32_e32 v53, v3
	v_pk_fma_f32 v[2:3], v[116:117], s[28:29], v[4:5]
	v_pk_fma_f32 v[58:59], v[116:117], s[28:29], v[4:5] neg_lo:[1,0,0] neg_hi:[1,0,0]
	v_accvgpr_write_b32 a38, v4
	v_pk_mul_f32 v[4:5], v[136:137], s[56:57]
	v_mov_b32_e32 v58, v2
	v_accvgpr_write_b32 a43, v5
	v_accvgpr_write_b32 a35, v3
	v_pk_fma_f32 v[2:3], v[118:119], s[0:1], v[4:5]
	v_pk_fma_f32 v[62:63], v[118:119], s[0:1], v[4:5] neg_lo:[1,0,0] neg_hi:[1,0,0]
	v_accvgpr_write_b32 a42, v4
	v_pk_mul_f32 v[4:5], v[138:139], s[50:51]
	v_mov_b32_e32 v62, v2
	v_accvgpr_write_b32 a45, v5
	v_accvgpr_write_b32 a37, v3
	v_pk_fma_f32 v[2:3], v[120:121], s[20:21], v[4:5]
	v_pk_fma_f32 v[66:67], v[120:121], s[20:21], v[4:5] neg_lo:[1,0,0] neg_hi:[1,0,0]
	v_accvgpr_write_b32 a44, v4
	v_pk_mul_f32 v[4:5], v[140:141], s[58:59]
	v_pk_add_f32 v[56:57], v[100:101], v[52:53]
	v_accvgpr_write_b32 a51, v5
	v_mov_b32_e32 v66, v2
	v_accvgpr_write_b32 a41, v3
	v_pk_fma_f32 v[2:3], v[122:123], s[30:31], v[4:5]
	v_pk_fma_f32 v[70:71], v[122:123], s[30:31], v[4:5] neg_lo:[1,0,0] neg_hi:[1,0,0]
	v_accvgpr_write_b32 a50, v4
	v_pk_mul_f32 v[4:5], v[142:143], s[42:43]
	v_pk_add_f32 v[60:61], v[58:59], v[56:57]
	v_accvgpr_write_b32 a55, v5
	v_pk_add_f32 v[64:65], v[62:63], v[60:61]
	v_mov_b32_e32 v70, v2
	v_accvgpr_write_b32 a47, v3
	v_pk_fma_f32 v[2:3], v[124:125], s[16:17], v[4:5]
	v_pk_fma_f32 v[74:75], v[124:125], s[16:17], v[4:5] neg_lo:[1,0,0] neg_hi:[1,0,0]
	v_accvgpr_write_b32 a54, v4
	v_pk_mul_f32 v[4:5], v[144:145], s[46:47]
	s_mov_b32 s7, 0xbe3c28d5
	v_pk_add_f32 v[68:69], v[66:67], v[64:65]
	v_accvgpr_write_b32 a57, v5
	s_mov_b32 s60, s7
	s_mov_b32 s61, s6
	v_pk_add_f32 v[72:73], v[70:71], v[68:69]
	v_mov_b32_e32 v74, v2
	v_accvgpr_write_b32 a49, v3
	v_pk_fma_f32 v[2:3], v[126:127], s[24:25], v[4:5]
	v_pk_fma_f32 v[78:79], v[126:127], s[24:25], v[4:5] neg_lo:[1,0,0] neg_hi:[1,0,0]
	v_accvgpr_write_b32 a56, v4
	v_pk_mul_f32 v[4:5], v[154:155], s[60:61]
	v_lshl_add_u32 v245, v150, 3, v179
	v_pk_add_f32 v[76:77], v[74:75], v[72:73]
	v_mov_b32_e32 v78, v2
	v_accvgpr_write_b32 a53, v3
	v_pk_fma_f32 v[2:3], v[128:129], s[6:7], v[4:5]
	v_accvgpr_write_b32 a1, v151
	v_pk_fma_f32 v[150:151], v[128:129], s[6:7], v[4:5] neg_lo:[1,0,0] neg_hi:[1,0,0]
	v_pk_add_f32 v[146:147], v[78:79], v[76:77]
	v_mov_b32_e32 v150, v2
	v_pk_add_f32 v[148:149], v[26:27], v[24:25]
	v_accvgpr_write_b32 a61, v5
	v_pk_add_f32 v[146:147], v[150:151], v[146:147]
	s_mov_b32 s38, s29
	v_accvgpr_write_b32 a60, v4
	ds_write2_b64 v245, v[148:149], v[146:147] offset1:1
	s_mov_b32 s36, s45
	v_pk_mul_f32 v[148:149], v[132:133], s[38:39] op_sel_hi:[1,0]
	v_pk_mul_f32 v[4:5], v[134:135], s[50:51]
	v_pk_fma_f32 v[150:151], v[130:131], s[36:37], v[148:149] op_sel:[0,0,1] op_sel_hi:[1,0,0]
	v_pk_fma_f32 v[148:149], v[130:131], s[36:37], v[148:149] op_sel:[0,0,1] op_sel_hi:[1,0,0] neg_lo:[0,0,1] neg_hi:[0,0,1]
	v_accvgpr_write_b32 a20, v158
	v_accvgpr_write_b32 a69, v5
	;; [unrolled: 1-line block ×4, first 2 shown]
	v_mov_b32_e32 v151, v149
	v_accvgpr_write_b32 a18, v156
	v_pk_fma_f32 v[2:3], v[116:117], s[20:21], v[4:5]
	v_accvgpr_write_b32 a21, v159
	v_pk_fma_f32 v[158:159], v[116:117], s[20:21], v[4:5] neg_lo:[1,0,0] neg_hi:[1,0,0]
	v_accvgpr_write_b32 a68, v4
	v_pk_mul_f32 v[4:5], v[136:137], s[42:43]
	v_accvgpr_write_b32 a24, v162
	v_accvgpr_write_b32 a19, v157
	v_pk_add_f32 v[156:157], v[100:101], v[150:151]
	v_mov_b32_e32 v158, v2
	v_accvgpr_write_b32 a65, v3
	v_accvgpr_write_b32 a22, v160
	v_pk_fma_f32 v[2:3], v[118:119], s[16:17], v[4:5]
	v_accvgpr_write_b32 a25, v163
	v_pk_fma_f32 v[162:163], v[118:119], s[16:17], v[4:5] neg_lo:[1,0,0] neg_hi:[1,0,0]
	v_accvgpr_write_b32 a23, v161
	v_pk_add_f32 v[160:161], v[158:159], v[156:157]
	v_mov_b32_e32 v162, v2
	v_accvgpr_write_b32 a3, v164
	v_accvgpr_write_b32 a26, v165
	v_pk_add_f32 v[164:165], v[162:163], v[160:161]
	v_pk_mul_f32 v[162:163], v[138:139], s[60:61]
	v_accvgpr_write_b32 a67, v3
	v_pk_fma_f32 v[2:3], v[120:121], s[6:7], v[162:163]
	v_accvgpr_write_b32 a27, v166
	v_accvgpr_write_b32 a28, v167
	v_pk_fma_f32 v[166:167], v[120:121], s[6:7], v[162:163] neg_lo:[1,0,0] neg_hi:[1,0,0]
	s_mov_b32 s37, 0x3f06c442
	v_mov_b32_e32 v166, v2
	s_mov_b32 s68, s37
	s_mov_b32 s69, s47
	v_mov_b32_e32 v2, v168
	v_accvgpr_write_b32 a29, v169
	v_pk_add_f32 v[168:169], v[166:167], v[164:165]
	s_mov_b32 s36, s47
	v_pk_mul_f32 v[166:167], v[140:141], s[68:69]
	v_accvgpr_write_b32 a30, v170
	v_pk_fma_f32 v[164:165], v[122:123], s[36:37], v[166:167]
	v_pk_fma_f32 v[170:171], v[122:123], s[36:37], v[166:167] neg_lo:[1,0,0] neg_hi:[1,0,0]
	v_pk_add_f32 v[180:181], v[180:181], v[212:213] neg_lo:[0,1] neg_hi:[0,1]
	v_mov_b32_e32 v170, v164
	v_accvgpr_write_b32 a2, v214
	v_pk_mul_f32 v[214:215], v[116:117], s[16:17]
	v_pk_add_f32 v[172:173], v[170:171], v[168:169]
	v_pk_mul_f32 v[170:171], v[142:143], s[54:55]
	v_mov_b32_e32 v183, v181
	v_accvgpr_write_b32 a16, v152
	v_pk_fma_f32 v[168:169], v[124:125], s[18:19], v[170:171]
	v_pk_fma_f32 v[174:175], v[124:125], s[18:19], v[170:171] neg_lo:[1,0,0] neg_hi:[1,0,0]
	s_mov_b32 s39, 0x3f65296c
	v_pk_add_f32 v[180:181], v[100:101], v[182:183]
	v_pk_add_f32 v[182:183], v[184:185], v[214:215] neg_lo:[0,1] neg_hi:[0,1]
	v_accvgpr_write_b32 a17, v153
	v_pk_mul_f32 v[152:153], v[120:121], s[18:19]
	v_mov_b32_e32 v174, v168
	s_mov_b32 s62, s39
	s_mov_b32 s63, s57
	v_mov_b32_e32 v187, v183
	v_pk_add_f32 v[182:183], v[188:189], v[102:103] neg_lo:[0,1] neg_hi:[0,1]
	v_pk_mul_f32 v[216:217], v[122:123], s[26:27]
	v_pk_add_f32 v[176:177], v[174:175], v[172:173]
	s_mov_b32 s38, s57
	v_pk_mul_f32 v[174:175], v[144:145], s[62:63]
	v_pk_add_f32 v[180:181], v[186:187], v[180:181]
	v_mov_b32_e32 v191, v183
	v_pk_add_f32 v[182:183], v[192:193], v[152:153] neg_lo:[0,1] neg_hi:[0,1]
	v_pk_mul_f32 v[218:219], v[124:125], s[34:35]
	v_pk_fma_f32 v[172:173], v[126:127], s[38:39], v[174:175]
	v_mov_b32_e32 v164, v179
	v_pk_fma_f32 v[178:179], v[126:127], s[38:39], v[174:175] neg_lo:[1,0,0] neg_hi:[1,0,0]
	s_mov_b32 s41, 0x3eb8f4ab
	v_pk_add_f32 v[180:181], v[190:191], v[180:181]
	v_mov_b32_e32 v195, v183
	v_pk_add_f32 v[182:183], v[196:197], v[216:217] neg_lo:[0,1] neg_hi:[0,1]
	v_pk_mul_f32 v[220:221], v[126:127], s[20:21]
	v_mov_b32_e32 v178, v172
	s_mov_b32 s66, s41
	s_mov_b32 s67, s49
	v_pk_add_f32 v[180:181], v[194:195], v[180:181]
	v_mov_b32_e32 v199, v183
	v_pk_add_f32 v[182:183], v[200:201], v[218:219] neg_lo:[0,1] neg_hi:[0,1]
	v_pk_mul_f32 v[0:1], v[128:129], s[24:25]
	v_pk_add_f32 v[228:229], v[178:179], v[176:177]
	s_mov_b32 s40, s49
	v_pk_mul_f32 v[178:179], v[154:155], s[66:67]
	v_pk_add_f32 v[180:181], v[198:199], v[180:181]
	v_mov_b32_e32 v203, v183
	v_pk_add_f32 v[182:183], v[204:205], v[220:221] neg_lo:[0,1] neg_hi:[0,1]
	v_pk_fma_f32 v[176:177], v[128:129], s[40:41], v[178:179]
	v_pk_fma_f32 v[230:231], v[128:129], s[40:41], v[178:179] neg_lo:[1,0,0] neg_hi:[1,0,0]
	v_pk_add_f32 v[180:181], v[202:203], v[180:181]
	v_mov_b32_e32 v207, v183
	v_pk_add_f32 v[182:183], v[208:209], v[0:1] neg_lo:[0,1] neg_hi:[0,1]
	v_mov_b32_e32 v230, v176
	v_pk_add_f32 v[180:181], v[206:207], v[180:181]
	v_mov_b32_e32 v211, v183
	v_pk_add_f32 v[228:229], v[230:231], v[228:229]
	v_pk_add_f32 v[180:181], v[210:211], v[180:181]
	s_mov_b32 s52, s51
	v_pk_mul_f32 v[182:183], v[132:133], s[50:51] op_sel_hi:[1,0]
	ds_write2_b64 v245, v[228:229], v[180:181] offset0:2 offset1:3
	v_pk_fma_f32 v[180:181], v[130:131], s[52:53], v[182:183] op_sel:[0,0,1] op_sel_hi:[1,0,0]
	v_pk_fma_f32 v[182:183], v[130:131], s[52:53], v[182:183] op_sel:[0,0,1] op_sel_hi:[1,0,0] neg_lo:[0,0,1] neg_hi:[0,0,1]
	v_mov_b32_e32 v184, v180
	v_mov_b32_e32 v185, v183
	v_pk_mul_f32 v[186:187], v[134:135], s[60:61]
	v_pk_add_f32 v[188:189], v[100:101], v[184:185]
	v_pk_fma_f32 v[184:185], v[116:117], s[6:7], v[186:187]
	v_pk_fma_f32 v[190:191], v[116:117], s[6:7], v[186:187] neg_lo:[1,0,0] neg_hi:[1,0,0]
	s_mov_b32 s74, s31
	v_mov_b32_e32 v190, v184
	v_pk_add_f32 v[192:193], v[190:191], v[188:189]
	v_pk_mul_f32 v[190:191], v[136:137], s[54:55]
	s_mov_b32 s72, s55
	v_pk_fma_f32 v[188:189], v[118:119], s[18:19], v[190:191]
	v_pk_fma_f32 v[194:195], v[118:119], s[18:19], v[190:191] neg_lo:[1,0,0] neg_hi:[1,0,0]
	v_pk_mul_f32 v[228:229], v[132:133], s[74:75] op_sel_hi:[1,0]
	v_mov_b32_e32 v194, v188
	v_pk_add_f32 v[196:197], v[194:195], v[192:193]
	v_pk_mul_f32 v[194:195], v[138:139], s[66:67]
	v_pk_fma_f32 v[160:161], v[130:131], s[72:73], v[228:229] op_sel:[0,0,1] op_sel_hi:[1,0,0]
	v_pk_fma_f32 v[192:193], v[120:121], s[40:41], v[194:195]
	v_pk_fma_f32 v[198:199], v[120:121], s[40:41], v[194:195] neg_lo:[1,0,0] neg_hi:[1,0,0]
	v_pk_fma_f32 v[228:229], v[130:131], s[72:73], v[228:229] op_sel:[0,0,1] op_sel_hi:[1,0,0] neg_lo:[0,0,1] neg_hi:[0,0,1]
	v_mov_b32_e32 v198, v192
	v_pk_add_f32 v[200:201], v[198:199], v[196:197]
	v_pk_mul_f32 v[198:199], v[140:141], s[56:57]
	v_pk_mul_f32 v[74:75], v[134:135], s[68:69]
	v_pk_fma_f32 v[196:197], v[122:123], s[0:1], v[198:199]
	v_pk_fma_f32 v[202:203], v[122:123], s[0:1], v[198:199] neg_lo:[1,0,0] neg_hi:[1,0,0]
	v_mov_b32_e32 v230, v160
	v_mov_b32_e32 v202, v196
	;; [unrolled: 1-line block ×3, first 2 shown]
	v_pk_add_f32 v[204:205], v[202:203], v[200:201]
	v_pk_mul_f32 v[202:203], v[142:143], s[46:47]
	v_pk_add_f32 v[232:233], v[100:101], v[230:231]
	v_pk_fma_f32 v[230:231], v[116:117], s[36:37], v[74:75]
	v_pk_fma_f32 v[234:235], v[116:117], s[36:37], v[74:75] neg_lo:[1,0,0] neg_hi:[1,0,0]
	v_pk_fma_f32 v[200:201], v[124:125], s[24:25], v[202:203]
	v_pk_fma_f32 v[206:207], v[124:125], s[24:25], v[202:203] neg_lo:[1,0,0] neg_hi:[1,0,0]
	s_mov_b32 s53, 0x3f4c4adb
	v_pk_mul_f32 v[76:77], v[136:137], s[44:45]
	v_mov_b32_e32 v234, v230
	v_mov_b32_e32 v206, v200
	s_mov_b32 s70, s53
	s_mov_b32 s71, s43
	v_pk_add_f32 v[234:235], v[234:235], v[232:233]
	v_pk_fma_f32 v[232:233], v[118:119], s[26:27], v[76:77]
	v_pk_fma_f32 v[236:237], v[118:119], s[26:27], v[76:77] neg_lo:[1,0,0] neg_hi:[1,0,0]
	v_pk_add_f32 v[208:209], v[206:207], v[204:205]
	s_mov_b32 s52, s43
	v_pk_mul_f32 v[206:207], v[144:145], s[70:71]
	v_pk_mul_f32 v[78:79], v[138:139], s[56:57]
	v_mov_b32_e32 v236, v232
	v_pk_fma_f32 v[204:205], v[126:127], s[52:53], v[206:207]
	v_pk_fma_f32 v[210:211], v[126:127], s[52:53], v[206:207] neg_lo:[1,0,0] neg_hi:[1,0,0]
	v_pk_add_f32 v[236:237], v[236:237], v[234:235]
	v_pk_fma_f32 v[234:235], v[120:121], s[0:1], v[78:79]
	v_pk_fma_f32 v[238:239], v[120:121], s[0:1], v[78:79] neg_lo:[1,0,0] neg_hi:[1,0,0]
	v_mov_b32_e32 v210, v204
	v_pk_mul_f32 v[150:151], v[140:141], s[60:61]
	s_mov_b32 s57, 0x3f7ee86f
	v_mov_b32_e32 v238, v234
	v_pk_add_f32 v[212:213], v[210:211], v[208:209]
	v_pk_mul_f32 v[210:211], v[154:155], s[44:45]
	s_mov_b32 s68, s57
	s_mov_b32 s69, s51
	v_pk_add_f32 v[238:239], v[238:239], v[236:237]
	v_pk_fma_f32 v[236:237], v[122:123], s[6:7], v[150:151]
	v_pk_fma_f32 v[240:241], v[122:123], s[6:7], v[150:151] neg_lo:[1,0,0] neg_hi:[1,0,0]
	v_pk_fma_f32 v[208:209], v[128:129], s[26:27], v[210:211]
	v_pk_fma_f32 v[214:215], v[128:129], s[26:27], v[210:211] neg_lo:[1,0,0] neg_hi:[1,0,0]
	s_mov_b32 s56, s51
	v_pk_mul_f32 v[146:147], v[142:143], s[68:69]
	v_mov_b32_e32 v240, v236
	v_mov_b32_e32 v214, v208
	v_pk_add_f32 v[240:241], v[240:241], v[238:239]
	v_pk_fma_f32 v[238:239], v[124:125], s[56:57], v[146:147]
	v_pk_fma_f32 v[242:243], v[124:125], s[56:57], v[146:147] neg_lo:[1,0,0] neg_hi:[1,0,0]
	v_pk_add_f32 v[246:247], v[214:215], v[212:213]
	v_pk_mul_f32 v[214:215], v[144:145], s[48:49]
	v_mov_b32_e32 v242, v238
	v_pk_add_f32 v[242:243], v[242:243], v[240:241]
	v_pk_fma_f32 v[158:159], v[126:127], s[34:35], v[214:215]
	v_pk_fma_f32 v[240:241], v[126:127], s[34:35], v[214:215] neg_lo:[1,0,0] neg_hi:[1,0,0]
	v_pk_mul_f32 v[212:213], v[154:155], s[42:43]
	v_mov_b32_e32 v240, v158
	v_pk_add_f32 v[240:241], v[240:241], v[242:243]
	v_pk_fma_f32 v[156:157], v[128:129], s[16:17], v[212:213]
	v_pk_fma_f32 v[242:243], v[128:129], s[16:17], v[212:213] neg_lo:[1,0,0] neg_hi:[1,0,0]
	s_mov_b32 s72, s43
	v_mov_b32_e32 v242, v156
	v_pk_add_f32 v[240:241], v[242:243], v[240:241]
	ds_write2_b64 v245, v[246:247], v[240:241] offset0:4 offset1:5
	v_pk_mul_f32 v[240:241], v[132:133], s[42:43] op_sel_hi:[1,0]
	v_pk_mul_f32 v[242:243], v[134:135], s[54:55]
	v_pk_fma_f32 v[72:73], v[130:131], s[72:73], v[240:241] op_sel:[0,0,1] op_sel_hi:[1,0,0]
	v_pk_fma_f32 v[240:241], v[130:131], s[72:73], v[240:241] op_sel:[0,0,1] op_sel_hi:[1,0,0] neg_lo:[0,0,1] neg_hi:[0,0,1]
	v_mov_b32_e32 v52, v72
	v_mov_b32_e32 v53, v241
	v_pk_fma_f32 v[70:71], v[116:117], s[18:19], v[242:243]
	v_pk_fma_f32 v[250:251], v[116:117], s[18:19], v[242:243] neg_lo:[1,0,0] neg_hi:[1,0,0]
	v_pk_mul_f32 v[246:247], v[136:137], s[48:49]
	v_pk_add_f32 v[52:53], v[100:101], v[52:53]
	v_mov_b32_e32 v250, v70
	v_pk_add_f32 v[52:53], v[250:251], v[52:53]
	v_pk_fma_f32 v[68:69], v[118:119], s[34:35], v[246:247]
	v_pk_fma_f32 v[250:251], v[118:119], s[34:35], v[246:247] neg_lo:[1,0,0] neg_hi:[1,0,0]
	v_accvgpr_write_b32 a71, v3
	v_mov_b32_e32 v168, v2
	v_pk_mul_f32 v[2:3], v[138:139], s[46:47]
	v_mov_b32_e32 v250, v68
	v_pk_add_f32 v[52:53], v[250:251], v[52:53]
	v_pk_fma_f32 v[66:67], v[120:121], s[24:25], v[2:3]
	v_pk_fma_f32 v[250:251], v[120:121], s[24:25], v[2:3] neg_lo:[1,0,0] neg_hi:[1,0,0]
	v_pk_mul_f32 v[24:25], v[140:141], s[68:69]
	v_mov_b32_e32 v250, v66
	v_pk_add_f32 v[52:53], v[250:251], v[52:53]
	v_pk_fma_f32 v[64:65], v[122:123], s[56:57], v[24:25]
	v_pk_fma_f32 v[250:251], v[122:123], s[56:57], v[24:25] neg_lo:[1,0,0] neg_hi:[1,0,0]
	v_pk_mul_f32 v[26:27], v[142:143], s[64:65]
	v_mov_b32_e32 v250, v64
	v_pk_add_f32 v[52:53], v[250:251], v[52:53]
	v_pk_fma_f32 v[62:63], v[124:125], s[28:29], v[26:27]
	v_pk_fma_f32 v[250:251], v[124:125], s[28:29], v[26:27] neg_lo:[1,0,0] neg_hi:[1,0,0]
	v_pk_mul_f32 v[54:55], v[144:145], s[60:61]
	v_mov_b32_e32 v250, v62
	v_pk_add_f32 v[52:53], v[250:251], v[52:53]
	v_pk_fma_f32 v[60:61], v[126:127], s[6:7], v[54:55]
	v_pk_fma_f32 v[250:251], v[126:127], s[6:7], v[54:55] neg_lo:[1,0,0] neg_hi:[1,0,0]
	v_pk_mul_f32 v[56:57], v[154:155], s[62:63]
	v_mov_b32_e32 v250, v60
	v_pk_add_f32 v[52:53], v[250:251], v[52:53]
	v_pk_fma_f32 v[58:59], v[128:129], s[38:39], v[56:57]
	v_pk_fma_f32 v[250:251], v[128:129], s[38:39], v[56:57] neg_lo:[1,0,0] neg_hi:[1,0,0]
	s_mov_b32 s54, s47
	v_mov_b32_e32 v250, v58
	v_pk_add_f32 v[52:53], v[250:251], v[52:53]
	v_pk_mul_f32 v[250:251], v[132:133], s[46:47] op_sel_hi:[1,0]
	v_accvgpr_write_b32 a14, v98
	v_pk_mul_f32 v[102:103], v[134:135], s[62:63]
	v_accvgpr_write_b32 a15, v99
	v_pk_fma_f32 v[98:99], v[130:131], s[54:55], v[250:251] op_sel:[0,0,1] op_sel_hi:[1,0,0]
	v_pk_fma_f32 v[250:251], v[130:131], s[54:55], v[250:251] op_sel:[0,0,1] op_sel_hi:[1,0,0] neg_lo:[0,0,1] neg_hi:[0,0,1]
	v_accvgpr_write_b32 a12, v86
	v_mov_b32_e32 v226, v98
	v_mov_b32_e32 v227, v251
	;; [unrolled: 1-line block ×3, first 2 shown]
	v_pk_fma_f32 v[80:81], v[116:117], s[38:39], v[102:103]
	v_accvgpr_write_b32 a13, v87
	v_pk_fma_f32 v[86:87], v[116:117], s[38:39], v[102:103] neg_lo:[1,0,0] neg_hi:[1,0,0]
	v_pk_mul_f32 v[152:153], v[136:137], s[50:51]
	v_pk_add_f32 v[226:227], v[100:101], v[226:227]
	v_mov_b32_e32 v86, v80
	v_accvgpr_write_b32 a4, v88
	v_pk_add_f32 v[86:87], v[86:87], v[226:227]
	v_accvgpr_write_b32 a5, v89
	v_accvgpr_write_b32 a6, v90
	;; [unrolled: 1-line block ×3, first 2 shown]
	v_pk_fma_f32 v[88:89], v[118:119], s[20:21], v[152:153]
	v_pk_fma_f32 v[226:227], v[118:119], s[20:21], v[152:153] neg_lo:[1,0,0] neg_hi:[1,0,0]
	v_pk_mul_f32 v[216:217], v[138:139], s[70:71]
	v_mov_b32_e32 v226, v88
	v_pk_add_f32 v[86:87], v[226:227], v[86:87]
	v_pk_fma_f32 v[90:91], v[120:121], s[52:53], v[216:217]
	v_pk_fma_f32 v[226:227], v[120:121], s[52:53], v[216:217] neg_lo:[1,0,0] neg_hi:[1,0,0]
	v_pk_mul_f32 v[218:219], v[140:141], s[48:49]
	v_mov_b32_e32 v226, v90
	v_accvgpr_write_b32 a8, v92
	v_pk_add_f32 v[86:87], v[226:227], v[86:87]
	v_accvgpr_write_b32 a9, v93
	v_accvgpr_write_b32 a10, v94
	;; [unrolled: 1-line block ×3, first 2 shown]
	v_pk_fma_f32 v[92:93], v[122:123], s[34:35], v[218:219]
	v_pk_fma_f32 v[226:227], v[122:123], s[34:35], v[218:219] neg_lo:[1,0,0] neg_hi:[1,0,0]
	v_pk_mul_f32 v[220:221], v[142:143], s[60:61]
	v_mov_b32_e32 v226, v92
	v_pk_add_f32 v[86:87], v[226:227], v[86:87]
	v_pk_fma_f32 v[94:95], v[124:125], s[6:7], v[220:221]
	v_pk_fma_f32 v[226:227], v[124:125], s[6:7], v[220:221] neg_lo:[1,0,0] neg_hi:[1,0,0]
	v_pk_mul_f32 v[222:223], v[144:145], s[44:45]
	v_mov_b32_e32 v226, v94
	v_pk_add_f32 v[86:87], v[226:227], v[86:87]
	v_mov_b32_e32 v0, v96
	v_mov_b32_e32 v58, v97
	v_pk_fma_f32 v[96:97], v[126:127], s[26:27], v[222:223]
	v_pk_fma_f32 v[226:227], v[126:127], s[26:27], v[222:223] neg_lo:[1,0,0] neg_hi:[1,0,0]
	v_pk_mul_f32 v[224:225], v[154:155], s[58:59]
	v_mov_b32_e32 v226, v96
	v_mov_b32_e32 v96, v0
	v_pk_add_f32 v[86:87], v[226:227], v[86:87]
	v_pk_fma_f32 v[0:1], v[128:129], s[30:31], v[224:225]
	v_pk_fma_f32 v[226:227], v[128:129], s[30:31], v[224:225] neg_lo:[1,0,0] neg_hi:[1,0,0]
	s_mov_b32 s48, s7
	v_mov_b32_e32 v226, v0
	v_pk_add_f32 v[86:87], v[226:227], v[86:87]
	ds_write2_b64 v245, v[52:53], v[86:87] offset0:6 offset1:7
	v_pk_mul_f32 v[52:53], v[132:133], s[48:49] op_sel_hi:[1,0]
	v_pk_mul_f32 v[86:87], v[134:135], s[66:67]
	v_pk_mul_f32 v[132:133], v[136:137], s[46:47]
	;; [unrolled: 1-line block ×4, first 2 shown]
	v_pk_fma_f32 v[144:145], v[130:131], s[6:7], v[52:53] op_sel:[0,0,1] op_sel_hi:[1,0,0]
	v_pk_fma_f32 v[52:53], v[130:131], s[6:7], v[52:53] op_sel:[0,0,1] op_sel_hi:[1,0,0] neg_lo:[0,0,1] neg_hi:[0,0,1]
	v_pk_mul_f32 v[134:135], v[138:139], s[44:45]
	v_pk_mul_f32 v[138:139], v[142:143], s[62:63]
	;; [unrolled: 1-line block ×3, first 2 shown]
	v_mov_b32_e32 v130, v144
	v_mov_b32_e32 v131, v53
	v_pk_fma_f32 v[154:155], v[116:117], s[40:41], v[86:87]
	v_pk_fma_f32 v[226:227], v[116:117], s[40:41], v[86:87] neg_lo:[1,0,0] neg_hi:[1,0,0]
	v_mov_b32_e32 v53, v145
	v_pk_fma_f32 v[86:87], v[116:117], s[40:41], v[86:87] neg_lo:[0,0,1] neg_hi:[0,0,1]
	v_pk_add_f32 v[130:131], v[100:101], v[130:131]
	v_mov_b32_e32 v226, v154
	v_pk_add_f32 v[52:53], v[100:101], v[52:53]
	v_mov_b32_e32 v87, v155
	v_pk_add_f32 v[130:131], v[226:227], v[130:131]
	v_pk_fma_f32 v[252:253], v[118:119], s[24:25], v[132:133]
	v_pk_fma_f32 v[226:227], v[118:119], s[24:25], v[132:133] neg_lo:[1,0,0] neg_hi:[1,0,0]
	v_pk_add_f32 v[52:53], v[86:87], v[52:53]
	v_pk_fma_f32 v[86:87], v[118:119], s[24:25], v[132:133] neg_lo:[0,0,1] neg_hi:[0,0,1]
	v_mov_b32_e32 v226, v252
	v_mov_b32_e32 v87, v253
	v_pk_add_f32 v[130:131], v[226:227], v[130:131]
	v_pk_fma_f32 v[226:227], v[120:121], s[26:27], v[134:135]
	v_pk_fma_f32 v[254:255], v[120:121], s[26:27], v[134:135] neg_lo:[1,0,0] neg_hi:[1,0,0]
	v_pk_add_f32 v[52:53], v[86:87], v[52:53]
	v_pk_fma_f32 v[86:87], v[120:121], s[26:27], v[134:135] neg_lo:[0,0,1] neg_hi:[0,0,1]
	v_accvgpr_write_b32 a73, v5
	v_mov_b32_e32 v254, v226
	v_mov_b32_e32 v87, v227
	v_accvgpr_write_b32 a72, v4
	v_pk_add_f32 v[130:131], v[254:255], v[130:131]
	v_pk_fma_f32 v[4:5], v[122:123], s[16:17], v[136:137]
	v_pk_fma_f32 v[254:255], v[122:123], s[16:17], v[136:137] neg_lo:[1,0,0] neg_hi:[1,0,0]
	v_pk_add_f32 v[52:53], v[86:87], v[52:53]
	v_pk_fma_f32 v[86:87], v[122:123], s[16:17], v[136:137] neg_lo:[0,0,1] neg_hi:[0,0,1]
	v_mov_b32_e32 v254, v4
	v_mov_b32_e32 v87, v5
	v_pk_add_f32 v[6:7], v[254:255], v[130:131]
	v_pk_fma_f32 v[130:131], v[124:125], s[38:39], v[138:139]
	v_pk_fma_f32 v[254:255], v[124:125], s[38:39], v[138:139] neg_lo:[1,0,0] neg_hi:[1,0,0]
	v_pk_add_f32 v[4:5], v[86:87], v[52:53]
	v_pk_fma_f32 v[52:53], v[124:125], s[38:39], v[138:139] neg_lo:[0,0,1] neg_hi:[0,0,1]
	v_mov_b32_e32 v254, v130
	v_mov_b32_e32 v53, v131
	;; [unrolled: 7-line block ×4, first 2 shown]
	v_pk_add_f32 v[6:7], v[254:255], v[6:7]
	v_pk_add_f32 v[4:5], v[52:53], v[4:5]
	ds_write2_b64 v245, v[6:7], v[4:5] offset0:8 offset1:9
	v_mov_b32_e32 v251, v99
	v_pk_fma_f32 v[6:7], v[116:117], s[38:39], v[102:103] neg_lo:[0,0,1] neg_hi:[0,0,1]
	v_pk_add_f32 v[4:5], v[100:101], v[250:251]
	v_mov_b32_e32 v7, v81
	v_pk_add_f32 v[4:5], v[6:7], v[4:5]
	v_pk_fma_f32 v[6:7], v[118:119], s[20:21], v[152:153] neg_lo:[0,0,1] neg_hi:[0,0,1]
	v_mov_b32_e32 v241, v73
	v_mov_b32_e32 v7, v89
	v_pk_add_f32 v[4:5], v[6:7], v[4:5]
	v_pk_fma_f32 v[6:7], v[120:121], s[52:53], v[216:217] neg_lo:[0,0,1] neg_hi:[0,0,1]
	v_pk_fma_f32 v[2:3], v[120:121], s[24:25], v[2:3] neg_lo:[0,0,1] neg_hi:[0,0,1]
	v_mov_b32_e32 v7, v91
	v_pk_add_f32 v[4:5], v[6:7], v[4:5]
	v_pk_fma_f32 v[6:7], v[122:123], s[34:35], v[218:219] neg_lo:[0,0,1] neg_hi:[0,0,1]
	v_mov_b32_e32 v3, v67
	v_mov_b32_e32 v7, v93
	v_pk_add_f32 v[4:5], v[6:7], v[4:5]
	v_pk_fma_f32 v[6:7], v[124:125], s[6:7], v[220:221] neg_lo:[0,0,1] neg_hi:[0,0,1]
	v_mov_b32_e32 v229, v161
	;; [unrolled: 4-line block ×3, first 2 shown]
	v_mov_b32_e32 v7, v97
	v_pk_add_f32 v[4:5], v[6:7], v[4:5]
	v_pk_fma_f32 v[6:7], v[128:129], s[30:31], v[224:225] neg_lo:[0,0,1] neg_hi:[0,0,1]
	v_accvgpr_read_b32 v149, a63
	v_mov_b32_e32 v7, v1
	v_pk_add_f32 v[0:1], v[6:7], v[4:5]
	v_pk_fma_f32 v[6:7], v[116:117], s[18:19], v[242:243] neg_lo:[0,0,1] neg_hi:[0,0,1]
	v_pk_add_f32 v[4:5], v[100:101], v[240:241]
	v_mov_b32_e32 v7, v71
	v_pk_add_f32 v[4:5], v[6:7], v[4:5]
	v_pk_fma_f32 v[6:7], v[118:119], s[34:35], v[246:247] neg_lo:[0,0,1] neg_hi:[0,0,1]
	v_accvgpr_read_b32 v103, a33
	v_mov_b32_e32 v7, v69
	v_pk_add_f32 v[4:5], v[6:7], v[4:5]
	v_accvgpr_read_b32 v102, a32
	v_pk_add_f32 v[2:3], v[2:3], v[4:5]
	v_pk_fma_f32 v[4:5], v[122:123], s[56:57], v[24:25] neg_lo:[0,0,1] neg_hi:[0,0,1]
	v_accvgpr_read_b32 v87, a13
	v_mov_b32_e32 v5, v65
	v_pk_add_f32 v[2:3], v[4:5], v[2:3]
	v_pk_fma_f32 v[4:5], v[124:125], s[28:29], v[26:27] neg_lo:[0,0,1] neg_hi:[0,0,1]
	v_accvgpr_read_b32 v99, a15
	v_mov_b32_e32 v5, v63
	;; [unrolled: 4-line block ×4, first 2 shown]
	v_pk_add_f32 v[2:3], v[4:5], v[2:3]
	ds_write2_b64 v245, v[0:1], v[2:3] offset0:10 offset1:11
	v_pk_fma_f32 v[2:3], v[116:117], s[36:37], v[74:75] neg_lo:[0,0,1] neg_hi:[0,0,1]
	v_pk_add_f32 v[0:1], v[100:101], v[228:229]
	v_mov_b32_e32 v3, v231
	v_pk_add_f32 v[0:1], v[2:3], v[0:1]
	v_pk_fma_f32 v[2:3], v[118:119], s[26:27], v[76:77] neg_lo:[0,0,1] neg_hi:[0,0,1]
	v_pk_fma_f32 v[4:5], v[116:117], s[6:7], v[186:187] neg_lo:[0,0,1] neg_hi:[0,0,1]
	v_mov_b32_e32 v3, v233
	v_pk_add_f32 v[0:1], v[2:3], v[0:1]
	v_pk_fma_f32 v[2:3], v[120:121], s[0:1], v[78:79] neg_lo:[0,0,1] neg_hi:[0,0,1]
	v_mov_b32_e32 v5, v185
	v_mov_b32_e32 v3, v235
	v_pk_add_f32 v[0:1], v[2:3], v[0:1]
	v_pk_fma_f32 v[2:3], v[122:123], s[6:7], v[150:151] neg_lo:[0,0,1] neg_hi:[0,0,1]
	v_accvgpr_read_b32 v95, a11
	v_mov_b32_e32 v3, v237
	v_pk_add_f32 v[0:1], v[2:3], v[0:1]
	v_pk_fma_f32 v[2:3], v[124:125], s[56:57], v[146:147] neg_lo:[0,0,1] neg_hi:[0,0,1]
	v_accvgpr_read_b32 v161, a23
	;; [unrolled: 4-line block ×4, first 2 shown]
	v_mov_b32_e32 v3, v157
	v_pk_add_f32 v[0:1], v[2:3], v[0:1]
	v_pk_add_f32 v[2:3], v[100:101], v[182:183]
	v_accvgpr_read_b32 v157, a19
	v_pk_add_f32 v[2:3], v[4:5], v[2:3]
	v_pk_fma_f32 v[4:5], v[118:119], s[18:19], v[190:191] neg_lo:[0,0,1] neg_hi:[0,0,1]
	v_accvgpr_read_b32 v98, a14
	v_mov_b32_e32 v5, v189
	v_pk_add_f32 v[2:3], v[4:5], v[2:3]
	v_pk_fma_f32 v[4:5], v[120:121], s[40:41], v[194:195] neg_lo:[0,0,1] neg_hi:[0,0,1]
	v_mov_b32_e32 v81, v60
	v_mov_b32_e32 v5, v193
	v_pk_add_f32 v[2:3], v[4:5], v[2:3]
	v_pk_fma_f32 v[4:5], v[122:123], s[0:1], v[198:199] neg_lo:[0,0,1] neg_hi:[0,0,1]
	v_accvgpr_read_b32 v152, a16
	v_mov_b32_e32 v5, v197
	v_pk_add_f32 v[2:3], v[4:5], v[2:3]
	v_pk_fma_f32 v[4:5], v[124:125], s[24:25], v[202:203] neg_lo:[0,0,1] neg_hi:[0,0,1]
	v_accvgpr_read_b32 v90, a6
	;; [unrolled: 4-line block ×4, first 2 shown]
	v_mov_b32_e32 v5, v209
	v_pk_add_f32 v[2:3], v[4:5], v[2:3]
	ds_write2_b64 v245, v[0:1], v[2:3] offset0:12 offset1:13
	v_accvgpr_read_b32 v2, a68
	v_accvgpr_read_b32 v3, a69
	v_pk_fma_f32 v[2:3], v[116:117], s[20:21], v[2:3] neg_lo:[0,0,1] neg_hi:[0,0,1]
	v_pk_add_f32 v[0:1], v[100:101], v[148:149]
	v_accvgpr_read_b32 v3, a65
	v_pk_add_f32 v[0:1], v[2:3], v[0:1]
	v_accvgpr_read_b32 v2, a72
	v_accvgpr_read_b32 v3, a73
	v_pk_fma_f32 v[2:3], v[118:119], s[16:17], v[2:3] neg_lo:[0,0,1] neg_hi:[0,0,1]
	v_accvgpr_read_b32 v94, a10
	v_accvgpr_read_b32 v3, a67
	v_pk_add_f32 v[0:1], v[2:3], v[0:1]
	v_pk_fma_f32 v[2:3], v[120:121], s[6:7], v[162:163] neg_lo:[0,0,1] neg_hi:[0,0,1]
	v_accvgpr_read_b32 v163, a25
	v_accvgpr_read_b32 v3, a71
	v_pk_add_f32 v[0:1], v[2:3], v[0:1]
	v_pk_fma_f32 v[2:3], v[122:123], s[36:37], v[166:167] neg_lo:[0,0,1] neg_hi:[0,0,1]
	v_accvgpr_read_b32 v93, a9
	v_mov_b32_e32 v3, v165
	v_pk_add_f32 v[0:1], v[2:3], v[0:1]
	v_pk_fma_f32 v[2:3], v[124:125], s[18:19], v[170:171] neg_lo:[0,0,1] neg_hi:[0,0,1]
	v_accvgpr_read_b32 v92, a8
	v_mov_b32_e32 v3, v169
	v_pk_add_f32 v[0:1], v[2:3], v[0:1]
	v_pk_fma_f32 v[2:3], v[126:127], s[38:39], v[174:175] neg_lo:[0,0,1] neg_hi:[0,0,1]
	v_mov_b32_e32 v97, v58
	v_mov_b32_e32 v3, v173
	v_pk_add_f32 v[0:1], v[2:3], v[0:1]
	v_pk_fma_f32 v[2:3], v[128:129], s[40:41], v[178:179] neg_lo:[0,0,1] neg_hi:[0,0,1]
	v_accvgpr_read_b32 v160, a22
	v_mov_b32_e32 v3, v177
	v_pk_add_f32 v[0:1], v[2:3], v[0:1]
	v_accvgpr_read_b32 v2, a38
	v_accvgpr_read_b32 v3, a39
	ds_write2_b64 v245, v[102:103], v[0:1] offset0:14 offset1:15
	v_accvgpr_read_b32 v0, a34
	v_accvgpr_read_b32 v1, a31
	v_pk_fma_f32 v[2:3], v[116:117], s[28:29], v[2:3] neg_lo:[0,0,1] neg_hi:[0,0,1]
	v_pk_add_f32 v[0:1], v[100:101], v[0:1]
	v_accvgpr_read_b32 v3, a35
	v_pk_add_f32 v[0:1], v[2:3], v[0:1]
	v_accvgpr_read_b32 v2, a42
	v_accvgpr_read_b32 v3, a43
	v_pk_fma_f32 v[2:3], v[118:119], s[0:1], v[2:3] neg_lo:[0,0,1] neg_hi:[0,0,1]
	v_accvgpr_read_b32 v151, a1
	v_accvgpr_read_b32 v3, a37
	v_pk_add_f32 v[0:1], v[2:3], v[0:1]
	v_accvgpr_read_b32 v2, a44
	v_accvgpr_read_b32 v3, a45
	v_pk_fma_f32 v[2:3], v[120:121], s[20:21], v[2:3] neg_lo:[0,0,1] neg_hi:[0,0,1]
	v_accvgpr_read_b32 v214, a2
	;; [unrolled: 6-line block ×6, first 2 shown]
	v_accvgpr_read_b32 v3, a59
	v_accvgpr_read_b32 v167, a28
	;; [unrolled: 1-line block ×6, first 2 shown]
	v_mov_b32_e32 v179, v164
	v_accvgpr_read_b32 v164, a3
	v_pk_add_f32 v[0:1], v[2:3], v[0:1]
	ds_write_b64 v245, v[0:1] offset:128
.LBB0_17:
	s_or_b64 exec, exec, s[22:23]
	v_add_u32_e32 v80, 0x1c00, v83
	s_waitcnt lgkmcnt(0)
	s_barrier
	ds_read2_b64 v[52:55], v80 offset0:124 offset1:209
	v_add_u32_e32 v0, 0x800, v83
	ds_read2_b64 v[56:59], v0 offset0:84 offset1:169
	v_mov_b32_e32 v100, v36
	v_mov_b32_e32 v101, v36
	s_waitcnt lgkmcnt(1)
	v_pk_mul_f32 v[0:1], v[162:163], v[52:53] op_sel:[1,0]
	v_add_u32_e32 v36, 0xc00, v83
	v_pk_fma_f32 v[2:3], v[162:163], v[52:53], v[0:1] op_sel:[0,0,1] op_sel_hi:[1,1,0]
	v_pk_fma_f32 v[0:1], v[162:163], v[52:53], v[0:1] op_sel:[0,0,1] op_sel_hi:[0,1,0] neg_lo:[0,0,1] neg_hi:[0,0,1]
	v_mov_b32_e32 v3, v1
	v_pk_mul_f32 v[0:1], v[160:161], v[54:55]
	s_waitcnt lgkmcnt(0)
	v_pk_add_f32 v[26:27], v[58:59], v[2:3] neg_lo:[0,1] neg_hi:[0,1]
	v_pk_fma_f32 v[2:3], v[114:115], v[54:55], v[0:1] op_sel:[0,0,1] op_sel_hi:[1,1,0]
	v_pk_fma_f32 v[24:25], v[58:59], 2.0, v[26:27] op_sel_hi:[1,0,1] neg_lo:[0,0,1] neg_hi:[0,0,1]
	v_add_u32_e32 v3, 0x1800, v83
	ds_read2_b64 v[62:65], v3 offset0:82 offset1:167
	ds_read2_b64 v[58:61], v36 offset0:126 offset1:211
	v_pk_fma_f32 v[0:1], v[114:115], v[54:55], v[0:1] op_sel:[0,0,1] op_sel_hi:[1,1,0] neg_lo:[0,0,1] neg_hi:[0,0,1]
	v_add_u32_e32 v4, 0x1000, v83
	v_mov_b32_e32 v3, v1
	s_waitcnt lgkmcnt(1)
	v_pk_mul_f32 v[0:1], v[156:157], v[64:65]
	s_waitcnt lgkmcnt(0)
	v_pk_add_f32 v[54:55], v[58:59], v[2:3] neg_lo:[0,1] neg_hi:[0,1]
	v_pk_fma_f32 v[2:3], v[112:113], v[64:65], v[0:1] op_sel:[0,0,1] op_sel_hi:[1,1,0]
	v_pk_fma_f32 v[0:1], v[112:113], v[64:65], v[0:1] op_sel:[0,0,1] op_sel_hi:[1,1,0] neg_lo:[0,0,1] neg_hi:[0,0,1]
	ds_read2_b64 v[64:67], v83 offset0:170 offset1:255
	ds_read2_b64 v[68:71], v4 offset0:168 offset1:253
	v_mov_b32_e32 v3, v1
	v_pk_add_f32 v[0:1], v[56:57], v[2:3] neg_lo:[0,1] neg_hi:[0,1]
	v_pk_mul_f32 v[2:3], v[158:159], v[62:63]
	v_pk_fma_f32 v[52:53], v[58:59], 2.0, v[54:55] op_sel_hi:[1,0,1] neg_lo:[0,0,1] neg_hi:[0,0,1]
	v_pk_fma_f32 v[4:5], v[110:111], v[62:63], v[2:3] op_sel:[0,0,1] op_sel_hi:[1,1,0]
	v_pk_fma_f32 v[2:3], v[110:111], v[62:63], v[2:3] op_sel:[0,0,1] op_sel_hi:[1,1,0] neg_lo:[0,0,1] neg_hi:[0,0,1]
	s_waitcnt lgkmcnt(0)
	v_pk_mul_f32 v[58:59], v[98:99], v[68:69]
	v_mov_b32_e32 v5, v3
	v_pk_add_f32 v[2:3], v[66:67], v[4:5] neg_lo:[0,1] neg_hi:[0,1]
	v_pk_mul_f32 v[4:5], v[152:153], v[70:71]
	v_mov_b32_e32 v122, v20
	v_pk_fma_f32 v[6:7], v[108:109], v[70:71], v[4:5] op_sel:[0,0,1] op_sel_hi:[1,1,0]
	v_pk_fma_f32 v[4:5], v[108:109], v[70:71], v[4:5] op_sel:[0,0,1] op_sel_hi:[1,1,0] neg_lo:[0,0,1] neg_hi:[0,0,1]
	v_pk_fma_f32 v[70:71], v[106:107], v[68:69], v[58:59] op_sel:[0,0,1] op_sel_hi:[1,1,0]
	v_mov_b32_e32 v7, v5
	v_pk_add_f32 v[4:5], v[64:65], v[6:7] neg_lo:[0,1] neg_hi:[0,1]
	v_pk_fma_f32 v[58:59], v[106:107], v[68:69], v[58:59] op_sel:[0,0,1] op_sel_hi:[1,1,0] neg_lo:[0,0,1] neg_hi:[0,0,1]
	v_pk_fma_f32 v[6:7], v[64:65], 2.0, v[4:5] op_sel_hi:[1,0,1] neg_lo:[0,0,1] neg_hi:[0,0,1]
	ds_read2_b64 v[62:65], v83 offset1:85
	v_mov_b32_e32 v71, v59
	v_pk_mul_f32 v[68:69], v[86:87], v[60:61]
	s_waitcnt lgkmcnt(0)
	s_barrier
	v_pk_add_f32 v[58:59], v[64:65], v[70:71] neg_lo:[0,1] neg_hi:[0,1]
	v_pk_fma_f32 v[70:71], v[84:85], v[60:61], v[68:69] op_sel:[0,0,1] op_sel_hi:[1,1,0]
	v_pk_fma_f32 v[60:61], v[84:85], v[60:61], v[68:69] op_sel:[0,0,1] op_sel_hi:[1,1,0] neg_lo:[0,0,1] neg_hi:[0,0,1]
	v_pk_fma_f32 v[64:65], v[64:65], 2.0, v[58:59] op_sel_hi:[1,0,1] neg_lo:[0,0,1] neg_hi:[0,0,1]
	v_mov_b32_e32 v71, v61
	v_pk_add_f32 v[60:61], v[62:63], v[70:71] neg_lo:[0,1] neg_hi:[0,1]
	s_nop 0
	v_pk_fma_f32 v[62:63], v[62:63], 2.0, v[60:61] op_sel_hi:[1,0,1] neg_lo:[0,0,1] neg_hi:[0,0,1]
	ds_write2_b64 v81, v[62:63], v[60:61] offset1:17
	ds_write2_b64 v151, v[64:65], v[58:59] offset1:17
	;; [unrolled: 1-line block ×3, first 2 shown]
	v_pk_fma_f32 v[4:5], v[66:67], 2.0, v[2:3] op_sel_hi:[1,0,1] neg_lo:[0,0,1] neg_hi:[0,0,1]
	ds_write2_b64 v165, v[4:5], v[2:3] offset1:17
	v_pk_fma_f32 v[2:3], v[56:57], 2.0, v[0:1] op_sel_hi:[1,0,1] neg_lo:[0,0,1] neg_hi:[0,0,1]
	ds_write2_b64 v166, v[2:3], v[0:1] offset1:17
	ds_write2_b64 v167, v[24:25], v[26:27] offset1:17
	;; [unrolled: 1-line block ×3, first 2 shown]
	v_add_u32_e32 v0, 0x400, v83
	v_add_u32_e32 v81, 0x1400, v83
	s_waitcnt lgkmcnt(0)
	s_barrier
	ds_read2_b64 v[56:59], v83 offset1:85
	ds_read2_b64 v[72:75], v0 offset0:110 offset1:195
	ds_read2_b64 v[68:71], v36 offset0:92 offset1:177
	;; [unrolled: 1-line block ×4, first 2 shown]
	v_mov_b32_e32 v123, v20
	v_mov_b32_e32 v20, v21
	;; [unrolled: 1-line block ×21, first 2 shown]
	s_and_saveexec_b64 s[0:1], s[2:3]
	s_cbranch_execz .LBB0_19
; %bb.18:
	v_add_u32_e32 v0, 0x500, v83
	ds_read2_b64 v[24:27], v0 offset0:10 offset1:248
	ds_read2_b64 v[52:55], v81 offset0:6 offset1:244
	ds_read_b64 v[102:103], v83 offset:8976
.LBB0_19:
	s_or_b64 exec, exec, s[0:1]
	s_waitcnt lgkmcnt(3)
	v_pk_mul_f32 v[0:1], v[20:21], v[72:73]
	s_waitcnt lgkmcnt(2)
	v_pk_mul_f32 v[2:3], v[22:23], v[68:69]
	;; [unrolled: 2-line block ×3, first 2 shown]
	v_pk_fma_f32 v[36:37], v[122:123], v[72:73], v[0:1] op_sel:[0,0,1] op_sel_hi:[1,1,0]
	v_pk_fma_f32 v[0:1], v[122:123], v[72:73], v[0:1] op_sel:[0,0,1] op_sel_hi:[1,1,0] neg_lo:[0,0,1] neg_hi:[0,0,1]
	v_pk_mul_f32 v[4:5], v[16:17], v[64:65]
	v_mov_b32_e32 v37, v1
	v_pk_fma_f32 v[0:1], v[120:121], v[68:69], v[2:3] op_sel:[0,0,1] op_sel_hi:[1,1,0]
	v_pk_fma_f32 v[2:3], v[120:121], v[68:69], v[2:3] op_sel:[0,0,1] op_sel_hi:[1,1,0] neg_lo:[0,0,1] neg_hi:[0,0,1]
	s_waitcnt lgkmcnt(0)
	v_pk_mul_f32 v[6:7], v[18:19], v[60:61]
	v_mov_b32_e32 v1, v3
	v_pk_fma_f32 v[2:3], v[118:119], v[64:65], v[4:5] op_sel:[0,0,1] op_sel_hi:[1,1,0]
	v_pk_fma_f32 v[4:5], v[118:119], v[64:65], v[4:5] op_sel:[0,0,1] op_sel_hi:[1,1,0] neg_lo:[0,0,1] neg_hi:[0,0,1]
	v_pk_mul_f32 v[16:17], v[40:41], v[74:75]
	v_mov_b32_e32 v3, v5
	v_pk_fma_f32 v[4:5], v[116:117], v[60:61], v[6:7] op_sel:[0,0,1] op_sel_hi:[1,1,0]
	v_pk_fma_f32 v[6:7], v[116:117], v[60:61], v[6:7] op_sel:[0,0,1] op_sel_hi:[1,1,0] neg_lo:[0,0,1] neg_hi:[0,0,1]
	v_pk_mul_f32 v[22:23], v[38:39], v[62:63]
	v_mov_b32_e32 v5, v7
	v_pk_add_f32 v[38:39], v[0:1], v[2:3]
	v_pk_add_f32 v[40:41], v[36:37], v[4:5] neg_lo:[0,1] neg_hi:[0,1]
	s_mov_b32 s6, 0x3f737871
	v_pk_mul_f32 v[18:19], v[42:43], v[70:71]
	v_pk_fma_f32 v[38:39], v[38:39], 0.5, v[56:57] op_sel_hi:[1,0,1] neg_lo:[1,0,0] neg_hi:[1,0,0]
	v_pk_mul_f32 v[42:43], v[40:41], s[6:7] op_sel_hi:[1,0]
	v_pk_add_f32 v[60:61], v[0:1], v[2:3] neg_lo:[0,1] neg_hi:[0,1]
	s_mov_b32 s16, 0x3f167918
	v_pk_add_f32 v[68:69], v[36:37], v[0:1] neg_lo:[0,1] neg_hi:[0,1]
	v_pk_add_f32 v[72:73], v[4:5], v[2:3] neg_lo:[0,1] neg_hi:[0,1]
	v_pk_add_f32 v[6:7], v[56:57], v[36:37]
	v_pk_mul_f32 v[64:65], v[60:61], s[16:17] op_sel_hi:[1,0]
	v_pk_add_f32 v[68:69], v[68:69], v[72:73]
	v_pk_add_f32 v[72:73], v[38:39], v[42:43] op_sel:[0,1] op_sel_hi:[1,0] neg_lo:[0,1] neg_hi:[0,1]
	v_pk_add_f32 v[38:39], v[38:39], v[42:43] op_sel:[0,1] op_sel_hi:[1,0]
	v_pk_add_f32 v[6:7], v[6:7], v[0:1]
	v_pk_add_f32 v[38:39], v[38:39], v[64:65] op_sel:[0,1] op_sel_hi:[1,0]
	v_pk_add_f32 v[42:43], v[72:73], v[64:65] op_sel:[0,1] op_sel_hi:[1,0] neg_lo:[0,1] neg_hi:[0,1]
	v_pk_add_f32 v[6:7], v[6:7], v[2:3]
	s_mov_b32 s0, 0x3e9e377a
	v_mov_b32_e32 v64, v42
	v_mov_b32_e32 v65, v39
	v_pk_add_f32 v[6:7], v[6:7], v[4:5]
	v_pk_fma_f32 v[64:65], v[68:69], s[0:1], v[64:65] op_sel_hi:[1,0,1]
	s_barrier
	ds_write2_b64 v169, v[6:7], v[64:65] offset1:34
	v_pk_add_f32 v[6:7], v[36:37], v[4:5]
	v_pk_add_f32 v[0:1], v[0:1], v[36:37] neg_lo:[0,1] neg_hi:[0,1]
	v_pk_add_f32 v[2:3], v[2:3], v[4:5] neg_lo:[0,1] neg_hi:[0,1]
	v_pk_fma_f32 v[6:7], v[6:7], 0.5, v[56:57] op_sel_hi:[1,0,1] neg_lo:[1,0,0] neg_hi:[1,0,0]
	v_pk_add_f32 v[0:1], v[0:1], v[2:3]
	v_pk_mul_f32 v[2:3], v[60:61], s[6:7] op_sel_hi:[1,0]
	v_pk_mul_f32 v[4:5], v[40:41], s[16:17] op_sel_hi:[1,0]
	v_pk_add_f32 v[36:37], v[6:7], v[2:3] op_sel:[0,1] op_sel_hi:[1,0]
	v_pk_add_f32 v[2:3], v[6:7], v[2:3] op_sel:[0,1] op_sel_hi:[1,0] neg_lo:[0,1] neg_hi:[0,1]
	v_mov_b32_e32 v39, v43
	v_pk_add_f32 v[2:3], v[2:3], v[4:5] op_sel:[0,1] op_sel_hi:[1,0]
	v_pk_add_f32 v[4:5], v[36:37], v[4:5] op_sel:[0,1] op_sel_hi:[1,0] neg_lo:[0,1] neg_hi:[0,1]
	v_mov_b32_e32 v7, v3
	v_mov_b32_e32 v6, v4
	;; [unrolled: 1-line block ×3, first 2 shown]
	v_pk_fma_f32 v[6:7], v[0:1], s[0:1], v[6:7] op_sel_hi:[1,0,1]
	v_pk_fma_f32 v[0:1], v[0:1], s[0:1], v[2:3] op_sel_hi:[1,0,1]
	ds_write2_b64 v169, v[6:7], v[0:1] offset0:68 offset1:102
	v_pk_fma_f32 v[0:1], v[68:69], s[0:1], v[38:39] op_sel_hi:[1,0,1]
	ds_write_b64 v169, v[0:1] offset:1088
	v_pk_fma_f32 v[0:1], v[78:79], v[74:75], v[16:17] op_sel:[0,0,1] op_sel_hi:[1,1,0]
	v_pk_fma_f32 v[2:3], v[78:79], v[74:75], v[16:17] op_sel:[0,0,1] op_sel_hi:[1,1,0] neg_lo:[0,0,1] neg_hi:[0,0,1]
	v_pk_fma_f32 v[4:5], v[76:77], v[70:71], v[18:19] op_sel:[0,0,1] op_sel_hi:[1,1,0] neg_lo:[0,0,1] neg_hi:[0,0,1]
	v_mov_b32_e32 v1, v3
	v_pk_fma_f32 v[2:3], v[76:77], v[70:71], v[18:19] op_sel:[0,0,1] op_sel_hi:[1,1,0]
	v_pk_fma_f32 v[6:7], v[100:101], v[66:67], v[20:21] op_sel:[0,0,1] op_sel_hi:[1,1,0] neg_lo:[0,0,1] neg_hi:[0,0,1]
	v_mov_b32_e32 v3, v5
	v_pk_fma_f32 v[4:5], v[100:101], v[66:67], v[20:21] op_sel:[0,0,1] op_sel_hi:[1,1,0]
	;; [unrolled: 3-line block ×3, first 2 shown]
	v_pk_add_f32 v[18:19], v[2:3], v[4:5]
	v_mov_b32_e32 v7, v17
	v_pk_add_f32 v[20:21], v[0:1], v[6:7] neg_lo:[0,1] neg_hi:[0,1]
	v_pk_fma_f32 v[18:19], v[18:19], 0.5, v[58:59] op_sel_hi:[1,0,1] neg_lo:[1,0,0] neg_hi:[1,0,0]
	v_pk_mul_f32 v[22:23], v[20:21], s[6:7] op_sel_hi:[1,0]
	v_pk_add_f32 v[36:37], v[2:3], v[4:5] neg_lo:[0,1] neg_hi:[0,1]
	v_pk_add_f32 v[40:41], v[0:1], v[2:3] neg_lo:[0,1] neg_hi:[0,1]
	;; [unrolled: 1-line block ×3, first 2 shown]
	v_pk_add_f32 v[16:17], v[58:59], v[0:1]
	v_pk_mul_f32 v[38:39], v[36:37], s[16:17] op_sel_hi:[1,0]
	v_pk_add_f32 v[40:41], v[40:41], v[42:43]
	v_pk_add_f32 v[42:43], v[18:19], v[22:23] op_sel:[0,1] op_sel_hi:[1,0] neg_lo:[0,1] neg_hi:[0,1]
	v_pk_add_f32 v[18:19], v[18:19], v[22:23] op_sel:[0,1] op_sel_hi:[1,0]
	v_pk_add_f32 v[16:17], v[16:17], v[2:3]
	v_pk_add_f32 v[18:19], v[18:19], v[38:39] op_sel:[0,1] op_sel_hi:[1,0]
	v_pk_add_f32 v[22:23], v[42:43], v[38:39] op_sel:[0,1] op_sel_hi:[1,0] neg_lo:[0,1] neg_hi:[0,1]
	v_pk_add_f32 v[16:17], v[16:17], v[4:5]
	v_mov_b32_e32 v38, v22
	v_mov_b32_e32 v39, v19
	v_pk_add_f32 v[16:17], v[16:17], v[6:7]
	v_pk_fma_f32 v[38:39], v[40:41], s[0:1], v[38:39] op_sel_hi:[1,0,1]
	ds_write2_b64 v170, v[16:17], v[38:39] offset1:34
	v_pk_add_f32 v[16:17], v[0:1], v[6:7]
	v_pk_add_f32 v[0:1], v[2:3], v[0:1] neg_lo:[0,1] neg_hi:[0,1]
	v_pk_add_f32 v[2:3], v[4:5], v[6:7] neg_lo:[0,1] neg_hi:[0,1]
	v_pk_fma_f32 v[16:17], v[16:17], 0.5, v[58:59] op_sel_hi:[1,0,1] neg_lo:[1,0,0] neg_hi:[1,0,0]
	v_pk_add_f32 v[0:1], v[0:1], v[2:3]
	v_pk_mul_f32 v[2:3], v[36:37], s[6:7] op_sel_hi:[1,0]
	v_pk_mul_f32 v[4:5], v[20:21], s[16:17] op_sel_hi:[1,0]
	v_pk_add_f32 v[6:7], v[16:17], v[2:3] op_sel:[0,1] op_sel_hi:[1,0]
	v_pk_add_f32 v[2:3], v[16:17], v[2:3] op_sel:[0,1] op_sel_hi:[1,0] neg_lo:[0,1] neg_hi:[0,1]
	v_mov_b32_e32 v19, v23
	v_pk_add_f32 v[2:3], v[2:3], v[4:5] op_sel:[0,1] op_sel_hi:[1,0]
	v_pk_add_f32 v[4:5], v[6:7], v[4:5] op_sel:[0,1] op_sel_hi:[1,0] neg_lo:[0,1] neg_hi:[0,1]
	v_mov_b32_e32 v7, v3
	v_mov_b32_e32 v6, v4
	;; [unrolled: 1-line block ×3, first 2 shown]
	v_pk_fma_f32 v[6:7], v[0:1], s[0:1], v[6:7] op_sel_hi:[1,0,1]
	v_pk_fma_f32 v[0:1], v[0:1], s[0:1], v[2:3] op_sel_hi:[1,0,1]
	v_add_u32_e32 v81, 0x2a8, v244
	ds_write2_b64 v170, v[6:7], v[0:1] offset0:68 offset1:102
	v_pk_fma_f32 v[0:1], v[40:41], s[0:1], v[18:19] op_sel_hi:[1,0,1]
	ds_write_b64 v170, v[0:1] offset:1088
	s_and_saveexec_b64 s[18:19], s[2:3]
	s_cbranch_execz .LBB0_21
; %bb.20:
	v_mul_u32_u24_e32 v16, 0xaa, v96
	v_pk_mul_f32 v[2:3], v[92:93], v[26:27] op_sel:[0,1]
	v_add_u32_sdwa v16, v16, v97 dst_sel:DWORD dst_unused:UNUSED_PAD src0_sel:DWORD src1_sel:BYTE_0
	v_pk_mul_f32 v[0:1], v[94:95], v[52:53] op_sel:[0,1]
	v_lshl_add_u32 v40, v16, 3, v179
	v_pk_fma_f32 v[16:17], v[92:93], v[26:27], v[2:3] op_sel:[0,0,1] op_sel_hi:[1,1,0]
	v_pk_fma_f32 v[2:3], v[92:93], v[26:27], v[2:3] op_sel:[0,0,1] op_sel_hi:[1,0,0] neg_lo:[1,0,0] neg_hi:[1,0,0]
	v_pk_mul_f32 v[6:7], v[90:91], v[102:103] op_sel:[0,1]
	v_mov_b32_e32 v17, v3
	v_pk_fma_f32 v[2:3], v[94:95], v[52:53], v[0:1] op_sel:[0,0,1] op_sel_hi:[1,1,0]
	v_pk_fma_f32 v[0:1], v[94:95], v[52:53], v[0:1] op_sel:[0,0,1] op_sel_hi:[1,0,0] neg_lo:[1,0,0] neg_hi:[1,0,0]
	v_pk_mul_f32 v[4:5], v[88:89], v[54:55] op_sel:[0,1]
	v_mov_b32_e32 v3, v1
	v_pk_fma_f32 v[0:1], v[90:91], v[102:103], v[6:7] op_sel:[0,0,1] op_sel_hi:[1,1,0]
	v_pk_fma_f32 v[6:7], v[90:91], v[102:103], v[6:7] op_sel:[0,0,1] op_sel_hi:[1,0,0] neg_lo:[1,0,0] neg_hi:[1,0,0]
	v_pk_add_f32 v[22:23], v[16:17], v[2:3] neg_lo:[0,1] neg_hi:[0,1]
	v_mov_b32_e32 v1, v7
	v_pk_fma_f32 v[6:7], v[88:89], v[54:55], v[4:5] op_sel:[0,0,1] op_sel_hi:[1,1,0]
	v_pk_fma_f32 v[4:5], v[88:89], v[54:55], v[4:5] op_sel:[0,0,1] op_sel_hi:[1,0,0] neg_lo:[1,0,0] neg_hi:[1,0,0]
	v_pk_add_f32 v[18:19], v[16:17], v[0:1] neg_lo:[0,1] neg_hi:[0,1]
	v_mov_b32_e32 v7, v5
	v_pk_add_f32 v[26:27], v[0:1], v[6:7] neg_lo:[0,1] neg_hi:[0,1]
	v_pk_add_f32 v[20:21], v[2:3], v[6:7] neg_lo:[0,1] neg_hi:[0,1]
	v_pk_add_f32 v[22:23], v[26:27], v[22:23]
	v_pk_add_f32 v[26:27], v[6:7], v[2:3]
	v_pk_mul_f32 v[36:37], v[18:19], s[6:7] op_sel_hi:[1,0]
	v_pk_fma_f32 v[26:27], v[26:27], 0.5, v[24:25] op_sel_hi:[1,0,1] neg_lo:[1,0,0] neg_hi:[1,0,0]
	v_pk_add_f32 v[4:5], v[24:25], v[16:17]
	v_pk_add_f32 v[38:39], v[26:27], v[36:37] op_sel:[0,1] op_sel_hi:[1,0] neg_lo:[0,1] neg_hi:[0,1]
	v_pk_add_f32 v[26:27], v[26:27], v[36:37] op_sel:[0,1] op_sel_hi:[1,0]
	v_pk_mul_f32 v[36:37], v[20:21], s[16:17] op_sel_hi:[1,0]
	v_pk_add_f32 v[4:5], v[2:3], v[4:5]
	v_pk_add_f32 v[26:27], v[26:27], v[36:37] op_sel:[0,1] op_sel_hi:[1,0]
	v_pk_add_f32 v[36:37], v[38:39], v[36:37] op_sel:[0,1] op_sel_hi:[1,0] neg_lo:[0,1] neg_hi:[0,1]
	v_pk_add_f32 v[4:5], v[6:7], v[4:5]
	v_mov_b32_e32 v38, v36
	v_mov_b32_e32 v39, v27
	v_pk_add_f32 v[4:5], v[0:1], v[4:5]
	v_pk_fma_f32 v[38:39], v[22:23], s[0:1], v[38:39] op_sel_hi:[1,0,1]
	ds_write2_b64 v40, v[4:5], v[38:39] offset1:34
	v_pk_add_f32 v[2:3], v[2:3], v[16:17] neg_lo:[0,1] neg_hi:[0,1]
	v_pk_add_f32 v[4:5], v[6:7], v[0:1] neg_lo:[0,1] neg_hi:[0,1]
	v_pk_add_f32 v[0:1], v[0:1], v[16:17]
	v_pk_add_f32 v[2:3], v[4:5], v[2:3]
	v_pk_fma_f32 v[0:1], v[0:1], 0.5, v[24:25] op_sel_hi:[1,0,1] neg_lo:[1,0,0] neg_hi:[1,0,0]
	v_pk_mul_f32 v[4:5], v[20:21], s[6:7] op_sel_hi:[1,0]
	v_mov_b32_e32 v27, v37
	v_pk_add_f32 v[6:7], v[0:1], v[4:5] op_sel:[0,1] op_sel_hi:[1,0]
	v_pk_add_f32 v[0:1], v[0:1], v[4:5] op_sel:[0,1] op_sel_hi:[1,0] neg_lo:[0,1] neg_hi:[0,1]
	v_pk_mul_f32 v[4:5], v[18:19], s[16:17] op_sel_hi:[1,0]
	s_nop 0
	v_pk_add_f32 v[0:1], v[0:1], v[4:5] op_sel:[0,1] op_sel_hi:[1,0]
	v_pk_add_f32 v[4:5], v[6:7], v[4:5] op_sel:[0,1] op_sel_hi:[1,0] neg_lo:[0,1] neg_hi:[0,1]
	v_mov_b32_e32 v7, v1
	v_mov_b32_e32 v6, v4
	;; [unrolled: 1-line block ×3, first 2 shown]
	v_pk_fma_f32 v[6:7], v[2:3], s[0:1], v[6:7] op_sel_hi:[1,0,1]
	v_pk_fma_f32 v[0:1], v[2:3], s[0:1], v[0:1] op_sel_hi:[1,0,1]
	ds_write2_b64 v40, v[6:7], v[0:1] offset0:68 offset1:102
	v_pk_fma_f32 v[0:1], v[22:23], s[0:1], v[26:27] op_sel_hi:[1,0,1]
	ds_write_b64 v40, v[0:1] offset:1088
.LBB0_21:
	s_or_b64 exec, exec, s[18:19]
	v_add_u32_e32 v16, 0xc00, v83
	s_waitcnt lgkmcnt(0)
	s_barrier
	ds_read2_b64 v[16:19], v16 offset0:126 offset1:211
	v_mov_b32_e32 v36, v45
	ds_read2_b64 v[0:3], v83 offset0:170 offset1:255
	v_add_u32_e32 v4, 0x800, v83
	ds_read2_b64 v[4:7], v4 offset0:84 offset1:169
	s_waitcnt lgkmcnt(2)
	v_pk_mul_f32 v[42:43], v[36:37], v[16:17] op_sel:[0,1] op_sel_hi:[1,0]
	v_add_u32_e32 v36, 0x1000, v83
	ds_read2_b64 v[36:39], v36 offset0:168 offset1:253
	v_pk_mul_f32 v[52:53], v[44:45], v[16:17] op_sel:[0,1] op_sel_hi:[1,0]
	v_pk_mul_f32 v[40:41], v[44:45], v[16:17]
	v_mov_b32_e32 v52, v53
	v_pk_fma_f32 v[44:45], v[44:45], v[16:17], v[52:53] op_sel:[0,1,0] op_sel_hi:[1,0,1] neg_lo:[0,0,1] neg_hi:[0,0,1]
	v_mov_b32_e32 v16, v47
	s_waitcnt lgkmcnt(0)
	v_pk_mul_f32 v[54:55], v[16:17], v[36:37] op_sel:[0,1] op_sel_hi:[1,0]
	v_pk_mul_f32 v[16:17], v[46:47], v[36:37] op_sel:[0,1] op_sel_hi:[1,0]
	v_pk_mul_f32 v[52:53], v[46:47], v[36:37]
	v_mov_b32_e32 v16, v17
	v_pk_fma_f32 v[36:37], v[46:47], v[36:37], v[16:17] op_sel:[0,1,0] op_sel_hi:[1,0,1] neg_lo:[0,0,1] neg_hi:[0,0,1]
	v_mov_b32_e32 v16, v49
	v_pk_mul_f32 v[56:57], v[16:17], v[18:19] op_sel:[0,1] op_sel_hi:[1,0]
	v_pk_mul_f32 v[16:17], v[48:49], v[18:19] op_sel:[0,1] op_sel_hi:[1,0]
	v_add_u32_e32 v20, 0x1800, v83
	v_mov_b32_e32 v16, v17
	ds_read2_b64 v[20:23], v20 offset0:82 offset1:167
	v_pk_mul_f32 v[46:47], v[48:49], v[18:19]
	v_pk_fma_f32 v[48:49], v[48:49], v[18:19], v[16:17] op_sel:[0,1,0] op_sel_hi:[1,0,1] neg_lo:[0,0,1] neg_hi:[0,0,1]
	v_mov_b32_e32 v16, v51
	v_add_u32_e32 v24, 0x1c00, v83
	v_pk_mul_f32 v[60:61], v[16:17], v[38:39] op_sel:[0,1] op_sel_hi:[1,0]
	v_pk_mul_f32 v[16:17], v[50:51], v[38:39] op_sel:[0,1] op_sel_hi:[1,0]
	ds_read2_b64 v[24:27], v24 offset0:124 offset1:209
	v_mov_b32_e32 v16, v17
	v_pk_mul_f32 v[62:63], v[32:33], v[0:1] op_sel_hi:[1,0]
	v_pk_mul_f32 v[58:59], v[50:51], v[38:39]
	v_pk_fma_f32 v[38:39], v[50:51], v[38:39], v[16:17] op_sel:[0,1,0] op_sel_hi:[1,0,1] neg_lo:[0,0,1] neg_hi:[0,0,1]
	v_mov_b32_e32 v50, v1
	v_pk_fma_f32 v[0:1], v[32:33], v[0:1], v[62:63] op_sel:[0,1,1] op_sel_hi:[1,1,0]
	v_pk_fma_f32 v[50:51], v[32:33], v[50:51], v[62:63] op_sel:[0,0,1] op_sel_hi:[1,1,0] neg_lo:[0,0,1] neg_hi:[0,0,1]
	v_mov_b32_e32 v0, v5
	v_pk_mul_f32 v[32:33], v[34:35], v[4:5] op_sel_hi:[1,0]
	v_mov_b32_e32 v51, v1
	v_pk_fma_f32 v[0:1], v[34:35], v[0:1], v[32:33] op_sel:[0,0,1] op_sel_hi:[1,1,0] neg_lo:[0,0,1] neg_hi:[0,0,1]
	v_pk_fma_f32 v[4:5], v[34:35], v[4:5], v[32:33] op_sel:[0,1,1] op_sel_hi:[1,1,0]
	s_waitcnt lgkmcnt(1)
	v_pk_mul_f32 v[32:33], v[28:29], v[20:21] op_sel_hi:[1,0]
	v_mov_b32_e32 v4, v21
	v_pk_fma_f32 v[20:21], v[28:29], v[20:21], v[32:33] op_sel:[0,1,1] op_sel_hi:[1,1,0]
	v_mov_b32_e32 v1, v5
	v_pk_fma_f32 v[4:5], v[28:29], v[4:5], v[32:33] op_sel:[0,0,1] op_sel_hi:[1,1,0] neg_lo:[0,0,1] neg_hi:[0,0,1]
	s_waitcnt lgkmcnt(0)
	v_mov_b32_e32 v20, v25
	v_pk_mul_f32 v[28:29], v[30:31], v[24:25] op_sel_hi:[1,0]
	v_mov_b32_e32 v5, v21
	v_pk_fma_f32 v[20:21], v[30:31], v[20:21], v[28:29] op_sel:[0,0,1] op_sel_hi:[1,1,0] neg_lo:[0,0,1] neg_hi:[0,0,1]
	v_pk_fma_f32 v[24:25], v[30:31], v[24:25], v[28:29] op_sel:[0,1,1] op_sel_hi:[1,1,0]
	v_mov_b32_e32 v53, v50
	v_mov_b32_e32 v21, v25
	;; [unrolled: 1-line block ×5, first 2 shown]
	v_pk_add_f32 v[24:25], v[50:51], v[20:21]
	v_pk_add_f32 v[28:29], v[50:51], v[20:21] neg_lo:[0,1] neg_hi:[0,1]
	v_pk_add_f32 v[30:31], v[0:1], v[4:5]
	v_pk_add_f32 v[32:33], v[0:1], v[4:5] neg_lo:[0,1] neg_hi:[0,1]
	v_pk_add_f32 v[20:21], v[52:53], v[54:55]
	v_pk_add_f32 v[0:1], v[40:41], v[42:43]
	v_mov_b32_e32 v37, v20
	v_mov_b32_e32 v45, v0
	ds_read2_b64 v[16:19], v83 offset1:85
	v_pk_add_f32 v[4:5], v[36:37], v[44:45] neg_lo:[0,1] neg_hi:[0,1]
	v_mov_b32_e32 v50, v31
	v_mov_b32_e32 v51, v44
	;; [unrolled: 1-line block ×8, first 2 shown]
	s_mov_b32 s16, 0x3f08b237
	v_pk_add_f32 v[36:37], v[50:51], v[44:45]
	v_pk_add_f32 v[44:45], v[0:1], v[20:21]
	s_mov_b32 s22, 0x3d64c772
	v_pk_add_f32 v[34:35], v[34:35], v[40:41] neg_lo:[0,1] neg_hi:[0,1]
	s_mov_b32 s17, 0xbeae86e6
	v_mov_b32_e32 v40, v28
	v_mov_b32_e32 v42, v4
	v_mov_b32_e32 v43, v33
	v_mov_b32_e32 v20, v44
	v_mov_b32_e32 v51, v37
	v_mov_b32_e32 v52, v25
	v_mov_b32_e32 v53, v37
	v_mov_b32_e32 v0, v44
	s_mov_b32 s23, 0x3f4a47b2
	v_pk_add_f32 v[40:41], v[40:41], v[42:43] neg_lo:[0,1] neg_hi:[0,1]
	s_mov_b32 s2, s17
	s_mov_b32 s3, s16
	v_pk_add_f32 v[50:51], v[20:21], v[50:51] neg_lo:[0,1] neg_hi:[0,1]
	v_pk_add_f32 v[52:53], v[52:53], v[0:1] neg_lo:[0,1] neg_hi:[0,1]
	s_mov_b32 s24, s23
	s_mov_b32 s25, s22
	v_pk_mul_f32 v[34:35], v[34:35], s[16:17]
	v_pk_mul_f32 v[42:43], v[40:41], s[2:3]
	v_pk_add_f32 v[4:5], v[4:5], v[32:33]
	v_pk_add_f32 v[36:37], v[36:37], v[44:45]
	v_pk_mul_f32 v[44:45], v[50:51], s[22:23]
	v_pk_mul_f32 v[50:51], v[52:53], s[24:25]
	v_mov_b32_e32 v0, v31
	v_mov_b32_e32 v20, v25
	s_movk_i32 s7, 0x1000
	v_pk_add_f32 v[4:5], v[4:5], v[28:29]
	s_waitcnt lgkmcnt(0)
	v_pk_add_f32 v[16:17], v[16:17], v[36:37]
	s_mov_b32 s20, 0x3f955555
	v_pk_fma_f32 v[52:53], v[52:53], s[24:25], v[44:45]
	v_pk_fma_f32 v[40:41], v[40:41], s[2:3], v[34:35]
	v_pk_add_f32 v[28:29], v[32:33], v[28:29] neg_lo:[0,1] neg_hi:[0,1]
	s_mov_b32 s6, 0xbf5ff5aa
	v_pk_add_f32 v[0:1], v[0:1], v[20:21] neg_lo:[0,1] neg_hi:[0,1]
	s_mov_b32 s18, 0x3f3bfb3b
	v_mov_b32_e32 v20, v50
	v_mov_b32_e32 v21, v45
	;; [unrolled: 1-line block ×6, first 2 shown]
	s_mov_b32 s0, 0xbee1c552
	v_pk_fma_f32 v[36:37], v[36:37], s[20:21], v[16:17] op_sel_hi:[1,0,1] neg_lo:[1,0,0] neg_hi:[1,0,0]
	v_pk_fma_f32 v[20:21], v[0:1], s[18:19], v[20:21] op_sel_hi:[1,0,1] neg_lo:[1,0,1] neg_hi:[1,0,1]
	;; [unrolled: 1-line block ×5, first 2 shown]
	v_pk_fma_f32 v[40:41], v[4:5], s[0:1], v[40:41] op_sel_hi:[1,0,1]
	v_pk_add_f32 v[20:21], v[20:21], v[36:37]
	v_pk_fma_f32 v[24:25], v[4:5], s[0:1], v[24:25] op_sel_hi:[1,0,1]
	v_pk_add_f32 v[0:1], v[0:1], v[36:37]
	;; [unrolled: 2-line block ×3, first 2 shown]
	v_pk_add_f32 v[20:21], v[20:21], v[24:25] neg_lo:[0,1] neg_hi:[0,1]
	v_pk_add_f32 v[28:29], v[0:1], v[4:5] neg_lo:[0,1] neg_hi:[0,1]
	v_pk_add_f32 v[4:5], v[0:1], v[4:5]
	v_mov_b32_e32 v25, v21
	v_mov_b32_e32 v33, v5
	v_mov_b32_e32 v5, v29
	v_mov_b32_e32 v21, v31
	v_add_u32_e32 v1, 0x1400, v244
	ds_write_b64 v244, v[16:17]
	ds_write2_b64 v1, v[4:5], v[20:21] offset0:40 offset1:210
	v_mov_b32_e32 v4, v3
	v_pk_mul_f32 v[20:21], v[12:13], v[2:3] op_sel_hi:[1,0]
	v_mov_b32_e32 v32, v28
	v_pk_fma_f32 v[4:5], v[12:13], v[4:5], v[20:21] op_sel:[0,0,1] op_sel_hi:[1,1,0] neg_lo:[0,0,1] neg_hi:[0,0,1]
	v_pk_fma_f32 v[2:3], v[12:13], v[2:3], v[20:21] op_sel:[0,1,1] op_sel_hi:[1,1,0]
	v_pk_mul_f32 v[12:13], v[14:15], v[6:7] op_sel_hi:[1,0]
	v_mov_b32_e32 v2, v7
	v_pk_fma_f32 v[6:7], v[14:15], v[6:7], v[12:13] op_sel:[0,1,1] op_sel_hi:[1,1,0]
	v_mov_b32_e32 v5, v3
	v_pk_fma_f32 v[2:3], v[14:15], v[2:3], v[12:13] op_sel:[0,0,1] op_sel_hi:[1,1,0] neg_lo:[0,0,1] neg_hi:[0,0,1]
	v_mov_b32_e32 v6, v23
	v_pk_mul_f32 v[12:13], v[8:9], v[22:23] op_sel_hi:[1,0]
	v_mov_b32_e32 v3, v7
	v_pk_fma_f32 v[6:7], v[8:9], v[6:7], v[12:13] op_sel:[0,0,1] op_sel_hi:[1,1,0] neg_lo:[0,0,1] neg_hi:[0,0,1]
	v_pk_fma_f32 v[8:9], v[8:9], v[22:23], v[12:13] op_sel:[0,1,1] op_sel_hi:[1,1,0]
	v_pk_mul_f32 v[12:13], v[10:11], v[26:27] op_sel_hi:[1,0]
	v_mov_b32_e32 v8, v27
	v_mov_b32_e32 v7, v9
	v_pk_fma_f32 v[8:9], v[10:11], v[8:9], v[12:13] op_sel:[0,0,1] op_sel_hi:[1,1,0] neg_lo:[0,0,1] neg_hi:[0,0,1]
	v_pk_fma_f32 v[10:11], v[10:11], v[26:27], v[12:13] op_sel:[0,1,1] op_sel_hi:[1,1,0]
	v_mov_b32_e32 v59, v4
	v_mov_b32_e32 v9, v11
	;; [unrolled: 1-line block ×5, first 2 shown]
	v_pk_add_f32 v[10:11], v[4:5], v[8:9]
	v_pk_add_f32 v[12:13], v[4:5], v[8:9] neg_lo:[0,1] neg_hi:[0,1]
	v_pk_add_f32 v[14:15], v[2:3], v[6:7]
	v_pk_add_f32 v[20:21], v[2:3], v[6:7] neg_lo:[0,1] neg_hi:[0,1]
	v_pk_add_f32 v[4:5], v[58:59], v[60:61]
	v_pk_add_f32 v[2:3], v[46:47], v[56:57]
	v_mov_b32_e32 v39, v4
	v_mov_b32_e32 v49, v2
	v_pk_add_f32 v[6:7], v[38:39], v[48:49] neg_lo:[0,1] neg_hi:[0,1]
	v_mov_b32_e32 v26, v15
	v_mov_b32_e32 v27, v48
	;; [unrolled: 1-line block ×5, first 2 shown]
	v_add_u32_e32 v0, 0x800, v244
	v_mov_b32_e32 v8, v6
	v_mov_b32_e32 v9, v13
	;; [unrolled: 1-line block ×4, first 2 shown]
	v_pk_add_f32 v[26:27], v[26:27], v[28:29]
	v_pk_add_f32 v[28:29], v[2:3], v[4:5]
	ds_write2_b64 v0, v[24:25], v[32:33] offset0:84 offset1:254
	v_pk_add_f32 v[8:9], v[8:9], v[22:23] neg_lo:[0,1] neg_hi:[0,1]
	v_mov_b32_e32 v22, v12
	v_mov_b32_e32 v24, v6
	;; [unrolled: 1-line block ×9, first 2 shown]
	v_pk_add_f32 v[22:23], v[22:23], v[24:25] neg_lo:[0,1] neg_hi:[0,1]
	v_pk_add_f32 v[30:31], v[4:5], v[30:31] neg_lo:[0,1] neg_hi:[0,1]
	;; [unrolled: 1-line block ×3, first 2 shown]
	v_pk_mul_f32 v[8:9], v[8:9], s[16:17]
	v_pk_mul_f32 v[24:25], v[22:23], s[2:3]
	v_pk_add_f32 v[6:7], v[6:7], v[20:21]
	v_pk_add_f32 v[26:27], v[26:27], v[28:29]
	v_pk_mul_f32 v[28:29], v[30:31], s[22:23]
	v_pk_mul_f32 v[30:31], v[32:33], s[24:25]
	v_mov_b32_e32 v2, v15
	v_mov_b32_e32 v4, v11
	v_pk_add_f32 v[6:7], v[6:7], v[12:13]
	v_pk_add_f32 v[18:19], v[18:19], v[26:27]
	v_pk_add_f32 v[12:13], v[20:21], v[12:13] neg_lo:[0,1] neg_hi:[0,1]
	v_pk_add_f32 v[2:3], v[2:3], v[4:5] neg_lo:[0,1] neg_hi:[0,1]
	v_mov_b32_e32 v4, v30
	v_mov_b32_e32 v5, v29
	;; [unrolled: 1-line block ×4, first 2 shown]
	v_pk_add_f32 v[52:53], v[52:53], v[36:37]
	v_pk_fma_f32 v[26:27], v[26:27], s[20:21], v[18:19] op_sel_hi:[1,0,1] neg_lo:[1,0,0] neg_hi:[1,0,0]
	v_pk_fma_f32 v[32:33], v[32:33], s[24:25], v[28:29]
	v_pk_fma_f32 v[22:23], v[22:23], s[2:3], v[8:9]
	v_pk_fma_f32 v[4:5], v[2:3], s[18:19], v[4:5] op_sel_hi:[1,0,1] neg_lo:[1,0,1] neg_hi:[1,0,1]
	v_pk_fma_f32 v[10:11], v[12:13], s[6:7], v[10:11] op_sel_hi:[1,0,1] neg_lo:[1,0,1] neg_hi:[1,0,1]
	v_mov_b32_e32 v29, v31
	v_mov_b32_e32 v9, v25
	v_pk_add_f32 v[54:55], v[52:53], v[40:41]
	v_pk_add_f32 v[40:41], v[52:53], v[40:41] neg_lo:[0,1] neg_hi:[0,1]
	v_pk_add_f32 v[32:33], v[32:33], v[26:27]
	v_pk_fma_f32 v[22:23], v[6:7], s[0:1], v[22:23] op_sel_hi:[1,0,1]
	v_pk_add_f32 v[4:5], v[4:5], v[26:27]
	v_pk_fma_f32 v[10:11], v[6:7], s[0:1], v[10:11] op_sel_hi:[1,0,1]
	v_pk_fma_f32 v[2:3], v[2:3], s[18:19], v[28:29] op_sel_hi:[1,0,1] neg_lo:[0,0,1] neg_hi:[0,0,1]
	v_pk_fma_f32 v[8:9], v[12:13], s[6:7], v[8:9] op_sel_hi:[1,0,1] neg_lo:[0,0,1] neg_hi:[0,0,1]
	v_mov_b32_e32 v16, v54
	v_mov_b32_e32 v17, v41
	v_pk_add_f32 v[34:35], v[32:33], v[22:23]
	v_pk_add_f32 v[22:23], v[32:33], v[22:23] neg_lo:[0,1] neg_hi:[0,1]
	v_pk_add_f32 v[14:15], v[4:5], v[10:11]
	v_pk_add_f32 v[4:5], v[4:5], v[10:11] neg_lo:[0,1] neg_hi:[0,1]
	v_pk_add_f32 v[2:3], v[2:3], v[26:27]
	v_pk_fma_f32 v[6:7], v[6:7], s[0:1], v[8:9] op_sel_hi:[1,0,1]
	ds_write2_b64 v244, v[18:19], v[16:17] offset0:85 offset1:170
	v_mov_b32_e32 v16, v34
	v_mov_b32_e32 v17, v23
	;; [unrolled: 1-line block ×4, first 2 shown]
	v_add_u32_e32 v1, 0x400, v81
	v_pk_add_f32 v[8:9], v[2:3], v[6:7] neg_lo:[0,1] neg_hi:[0,1]
	v_pk_add_f32 v[2:3], v[2:3], v[6:7]
	ds_write2_b64 v1, v[16:17], v[10:11] offset0:42 offset1:212
	v_mov_b32_e32 v6, v8
	v_mov_b32_e32 v7, v3
	;; [unrolled: 1-line block ×3, first 2 shown]
	v_add_u32_e32 v1, 0xe00, v81
	v_mov_b32_e32 v41, v55
	ds_write2_b64 v1, v[6:7], v[2:3] offset0:62 offset1:232
	v_mov_b32_e32 v5, v15
	v_mov_b32_e32 v23, v35
	v_add_u32_e32 v1, 0x1800, v81
	ds_write_b64 v244, v[40:41] offset:8160
	ds_write2_b64 v1, v[4:5], v[22:23] offset0:82 offset1:252
	s_waitcnt lgkmcnt(0)
	s_barrier
	s_and_b64 exec, exec, s[4:5]
	s_cbranch_execz .LBB0_23
; %bb.22:
	global_load_dwordx2 v[2:3], v212, s[12:13]
	ds_read_b64 v[8:9], v244
	v_mad_u64_u32 v[6:7], s[0:1], s10, v214, 0
	v_mad_u64_u32 v[10:11], s[2:3], s8, v82, 0
	v_mov_b32_e32 v12, v7
	v_mov_b32_e32 v14, v11
	v_mad_u64_u32 v[12:13], s[2:3], s11, v214, v[12:13]
	v_mov_b32_e32 v4, s14
	v_mov_b32_e32 v5, s15
	;; [unrolled: 3-line block ×3, first 2 shown]
	v_lshl_add_u64 v[4:5], v[6:7], 3, v[4:5]
	s_mov_b32 s0, 0x1b89401c
	v_lshl_add_u64 v[6:7], v[10:11], 3, v[4:5]
	s_mov_b32 s1, 0x3f4b8940
	v_mov_b32_e32 v12, 0x230
	s_mul_i32 s2, s9, 0x230
	v_mov_b32_e32 v213, 0
	s_movk_i32 s3, 0x2000
	s_waitcnt vmcnt(0) lgkmcnt(0)
	v_mul_f32_e32 v1, v9, v3
	v_mul_f32_e32 v3, v8, v3
	v_fmac_f32_e32 v1, v8, v2
	v_fma_f32 v4, v2, v9, -v3
	v_cvt_f64_f32_e32 v[2:3], v1
	v_cvt_f64_f32_e32 v[4:5], v4
	v_mul_f64 v[2:3], v[2:3], s[0:1]
	v_mul_f64 v[4:5], v[4:5], s[0:1]
	v_cvt_f32_f64_e32 v2, v[2:3]
	v_cvt_f32_f64_e32 v3, v[4:5]
	global_store_dwordx2 v[6:7], v[2:3], off
	global_load_dwordx2 v[8:9], v212, s[12:13] offset:560
	ds_read2_b64 v[2:5], v244 offset0:70 offset1:140
	v_mad_u64_u32 v[6:7], s[4:5], s8, v12, v[6:7]
	v_add_u32_e32 v7, s2, v7
	s_waitcnt vmcnt(0) lgkmcnt(0)
	v_mul_f32_e32 v1, v3, v9
	v_mul_f32_e32 v9, v2, v9
	v_fmac_f32_e32 v1, v2, v8
	v_fma_f32 v8, v8, v3, -v9
	v_cvt_f64_f32_e32 v[2:3], v1
	v_cvt_f64_f32_e32 v[8:9], v8
	v_mul_f64 v[2:3], v[2:3], s[0:1]
	v_mul_f64 v[8:9], v[8:9], s[0:1]
	v_cvt_f32_f64_e32 v2, v[2:3]
	v_cvt_f32_f64_e32 v3, v[8:9]
	global_store_dwordx2 v[6:7], v[2:3], off
	global_load_dwordx2 v[2:3], v212, s[12:13] offset:1120
	v_mad_u64_u32 v[6:7], s[4:5], s8, v12, v[6:7]
	v_add_u32_e32 v7, s2, v7
	s_waitcnt vmcnt(0)
	v_mul_f32_e32 v1, v5, v3
	v_mul_f32_e32 v3, v4, v3
	v_fmac_f32_e32 v1, v4, v2
	v_fma_f32 v4, v2, v5, -v3
	v_cvt_f64_f32_e32 v[2:3], v1
	v_cvt_f64_f32_e32 v[4:5], v4
	v_mul_f64 v[2:3], v[2:3], s[0:1]
	v_mul_f64 v[4:5], v[4:5], s[0:1]
	v_cvt_f32_f64_e32 v2, v[2:3]
	v_cvt_f32_f64_e32 v3, v[4:5]
	global_store_dwordx2 v[6:7], v[2:3], off
	global_load_dwordx2 v[8:9], v212, s[12:13] offset:1680
	v_add_u32_e32 v1, 0x400, v244
	ds_read2_b64 v[2:5], v1 offset0:82 offset1:152
	v_mad_u64_u32 v[6:7], s[4:5], s8, v12, v[6:7]
	v_add_u32_e32 v7, s2, v7
	s_waitcnt vmcnt(0) lgkmcnt(0)
	v_mul_f32_e32 v1, v3, v9
	v_mul_f32_e32 v9, v2, v9
	v_fmac_f32_e32 v1, v2, v8
	v_fma_f32 v8, v8, v3, -v9
	v_cvt_f64_f32_e32 v[2:3], v1
	v_cvt_f64_f32_e32 v[8:9], v8
	v_mul_f64 v[2:3], v[2:3], s[0:1]
	v_mul_f64 v[8:9], v[8:9], s[0:1]
	v_cvt_f32_f64_e32 v2, v[2:3]
	v_cvt_f32_f64_e32 v3, v[8:9]
	global_store_dwordx2 v[6:7], v[2:3], off
	global_load_dwordx2 v[2:3], v212, s[12:13] offset:2240
	v_mad_u64_u32 v[6:7], s[4:5], s8, v12, v[6:7]
	v_add_u32_e32 v7, s2, v7
	s_waitcnt vmcnt(0)
	v_mul_f32_e32 v1, v5, v3
	v_mul_f32_e32 v3, v4, v3
	v_fmac_f32_e32 v1, v4, v2
	v_fma_f32 v4, v2, v5, -v3
	v_cvt_f64_f32_e32 v[2:3], v1
	v_cvt_f64_f32_e32 v[4:5], v4
	v_mul_f64 v[2:3], v[2:3], s[0:1]
	v_mul_f64 v[4:5], v[4:5], s[0:1]
	v_cvt_f32_f64_e32 v2, v[2:3]
	v_cvt_f32_f64_e32 v3, v[4:5]
	global_store_dwordx2 v[6:7], v[2:3], off
	global_load_dwordx2 v[4:5], v212, s[12:13] offset:2800
	ds_read2_b64 v[0:3], v0 offset0:94 offset1:164
	v_mad_u64_u32 v[6:7], s[4:5], s8, v12, v[6:7]
	v_add_u32_e32 v7, s2, v7
	s_waitcnt vmcnt(0) lgkmcnt(0)
	v_mul_f32_e32 v8, v1, v5
	v_mul_f32_e32 v5, v0, v5
	v_fmac_f32_e32 v8, v0, v4
	v_fma_f32 v4, v4, v1, -v5
	v_cvt_f64_f32_e32 v[0:1], v8
	v_cvt_f64_f32_e32 v[4:5], v4
	v_mul_f64 v[0:1], v[0:1], s[0:1]
	v_mul_f64 v[4:5], v[4:5], s[0:1]
	v_cvt_f32_f64_e32 v0, v[0:1]
	v_cvt_f32_f64_e32 v1, v[4:5]
	global_store_dwordx2 v[6:7], v[0:1], off
	global_load_dwordx2 v[0:1], v212, s[12:13] offset:3360
	v_mad_u64_u32 v[4:5], s[4:5], s8, v12, v[6:7]
	v_add_u32_e32 v5, s2, v5
	v_lshl_add_u64 v[8:9], s[12:13], 0, v[212:213]
	v_add_co_u32_e32 v10, vcc, s7, v8
	s_waitcnt vmcnt(0)
	v_mul_f32_e32 v6, v3, v1
	v_mul_f32_e32 v1, v2, v1
	v_fmac_f32_e32 v6, v2, v0
	v_fma_f32 v2, v0, v3, -v1
	v_cvt_f64_f32_e32 v[0:1], v6
	v_cvt_f64_f32_e32 v[2:3], v2
	v_mul_f64 v[0:1], v[0:1], s[0:1]
	v_mul_f64 v[2:3], v[2:3], s[0:1]
	v_cvt_f32_f64_e32 v0, v[0:1]
	v_cvt_f32_f64_e32 v1, v[2:3]
	global_store_dwordx2 v[4:5], v[0:1], off
	global_load_dwordx2 v[6:7], v212, s[12:13] offset:3920
	v_add_u32_e32 v0, 0xc00, v244
	ds_read2_b64 v[0:3], v0 offset0:106 offset1:176
	v_mad_u64_u32 v[4:5], s[4:5], s8, v12, v[4:5]
	v_add_u32_e32 v5, s2, v5
	v_addc_co_u32_e32 v11, vcc, 0, v9, vcc
	s_waitcnt vmcnt(0) lgkmcnt(0)
	v_mul_f32_e32 v13, v1, v7
	v_mul_f32_e32 v7, v0, v7
	v_fmac_f32_e32 v13, v0, v6
	v_fma_f32 v6, v6, v1, -v7
	v_cvt_f64_f32_e32 v[0:1], v13
	v_cvt_f64_f32_e32 v[6:7], v6
	v_mul_f64 v[0:1], v[0:1], s[0:1]
	v_mul_f64 v[6:7], v[6:7], s[0:1]
	v_cvt_f32_f64_e32 v0, v[0:1]
	v_cvt_f32_f64_e32 v1, v[6:7]
	global_store_dwordx2 v[4:5], v[0:1], off
	global_load_dwordx2 v[0:1], v[10:11], off offset:384
	v_mad_u64_u32 v[4:5], s[4:5], s8, v12, v[4:5]
	v_add_u32_e32 v5, s2, v5
	s_waitcnt vmcnt(0)
	v_mul_f32_e32 v6, v3, v1
	v_mul_f32_e32 v1, v2, v1
	v_fmac_f32_e32 v6, v2, v0
	v_fma_f32 v2, v0, v3, -v1
	v_cvt_f64_f32_e32 v[0:1], v6
	v_cvt_f64_f32_e32 v[2:3], v2
	v_mul_f64 v[0:1], v[0:1], s[0:1]
	v_mul_f64 v[2:3], v[2:3], s[0:1]
	v_cvt_f32_f64_e32 v0, v[0:1]
	v_cvt_f32_f64_e32 v1, v[2:3]
	global_store_dwordx2 v[4:5], v[0:1], off
	global_load_dwordx2 v[6:7], v[10:11], off offset:944
	v_add_u32_e32 v0, 0x1000, v244
	ds_read2_b64 v[0:3], v0 offset0:118 offset1:188
	v_mad_u64_u32 v[4:5], s[4:5], s8, v12, v[4:5]
	v_add_u32_e32 v5, s2, v5
	s_waitcnt vmcnt(0) lgkmcnt(0)
	v_mul_f32_e32 v13, v1, v7
	v_mul_f32_e32 v7, v0, v7
	v_fmac_f32_e32 v13, v0, v6
	v_fma_f32 v6, v6, v1, -v7
	v_cvt_f64_f32_e32 v[0:1], v13
	v_cvt_f64_f32_e32 v[6:7], v6
	v_mul_f64 v[0:1], v[0:1], s[0:1]
	v_mul_f64 v[6:7], v[6:7], s[0:1]
	v_cvt_f32_f64_e32 v0, v[0:1]
	v_cvt_f32_f64_e32 v1, v[6:7]
	global_store_dwordx2 v[4:5], v[0:1], off
	global_load_dwordx2 v[0:1], v[10:11], off offset:1504
	v_mad_u64_u32 v[4:5], s[4:5], s8, v12, v[4:5]
	v_add_u32_e32 v5, s2, v5
	v_add_u32_e32 v13, 0x1800, v244
	s_waitcnt vmcnt(0)
	v_mul_f32_e32 v6, v3, v1
	v_mul_f32_e32 v1, v2, v1
	v_fmac_f32_e32 v6, v2, v0
	v_fma_f32 v2, v0, v3, -v1
	v_cvt_f64_f32_e32 v[0:1], v6
	v_cvt_f64_f32_e32 v[2:3], v2
	v_mul_f64 v[0:1], v[0:1], s[0:1]
	v_mul_f64 v[2:3], v[2:3], s[0:1]
	v_cvt_f32_f64_e32 v0, v[0:1]
	v_cvt_f32_f64_e32 v1, v[2:3]
	global_store_dwordx2 v[4:5], v[0:1], off
	global_load_dwordx2 v[6:7], v[10:11], off offset:2064
	ds_read2_b64 v[0:3], v13 offset0:2 offset1:72
	v_mad_u64_u32 v[4:5], s[4:5], s8, v12, v[4:5]
	v_add_u32_e32 v5, s2, v5
	s_waitcnt vmcnt(0) lgkmcnt(0)
	v_mul_f32_e32 v14, v1, v7
	v_mul_f32_e32 v7, v0, v7
	v_fmac_f32_e32 v14, v0, v6
	v_fma_f32 v6, v6, v1, -v7
	v_cvt_f64_f32_e32 v[0:1], v14
	v_cvt_f64_f32_e32 v[6:7], v6
	v_mul_f64 v[0:1], v[0:1], s[0:1]
	v_mul_f64 v[6:7], v[6:7], s[0:1]
	v_cvt_f32_f64_e32 v0, v[0:1]
	v_cvt_f32_f64_e32 v1, v[6:7]
	global_store_dwordx2 v[4:5], v[0:1], off
	global_load_dwordx2 v[0:1], v[10:11], off offset:2624
	v_mad_u64_u32 v[4:5], s[4:5], s8, v12, v[4:5]
	v_add_u32_e32 v5, s2, v5
	s_waitcnt vmcnt(0)
	v_mul_f32_e32 v6, v3, v1
	v_mul_f32_e32 v1, v2, v1
	v_fmac_f32_e32 v6, v2, v0
	v_fma_f32 v2, v0, v3, -v1
	v_cvt_f64_f32_e32 v[0:1], v6
	v_cvt_f64_f32_e32 v[2:3], v2
	v_mul_f64 v[0:1], v[0:1], s[0:1]
	v_mul_f64 v[2:3], v[2:3], s[0:1]
	v_cvt_f32_f64_e32 v0, v[0:1]
	v_cvt_f32_f64_e32 v1, v[2:3]
	global_store_dwordx2 v[4:5], v[0:1], off
	global_load_dwordx2 v[6:7], v[10:11], off offset:3184
	ds_read2_b64 v[0:3], v13 offset0:142 offset1:212
	v_mad_u64_u32 v[4:5], s[4:5], s8, v12, v[4:5]
	v_add_u32_e32 v5, s2, v5
	s_waitcnt vmcnt(0) lgkmcnt(0)
	v_mul_f32_e32 v13, v1, v7
	v_mul_f32_e32 v7, v0, v7
	v_fmac_f32_e32 v13, v0, v6
	v_fma_f32 v6, v6, v1, -v7
	v_cvt_f64_f32_e32 v[0:1], v13
	v_cvt_f64_f32_e32 v[6:7], v6
	v_mul_f64 v[0:1], v[0:1], s[0:1]
	v_mul_f64 v[6:7], v[6:7], s[0:1]
	v_cvt_f32_f64_e32 v0, v[0:1]
	v_cvt_f32_f64_e32 v1, v[6:7]
	global_store_dwordx2 v[4:5], v[0:1], off
	global_load_dwordx2 v[0:1], v[10:11], off offset:3744
	v_add_co_u32_e32 v6, vcc, s3, v8
	v_mad_u64_u32 v[4:5], s[4:5], s8, v12, v[4:5]
	v_add_u32_e32 v5, s2, v5
	v_addc_co_u32_e32 v7, vcc, 0, v9, vcc
	s_waitcnt vmcnt(0)
	v_mul_f32_e32 v8, v3, v1
	v_mul_f32_e32 v1, v2, v1
	v_fmac_f32_e32 v8, v2, v0
	v_fma_f32 v2, v0, v3, -v1
	v_cvt_f64_f32_e32 v[0:1], v8
	v_cvt_f64_f32_e32 v[2:3], v2
	v_mul_f64 v[0:1], v[0:1], s[0:1]
	v_mul_f64 v[2:3], v[2:3], s[0:1]
	v_cvt_f32_f64_e32 v0, v[0:1]
	v_cvt_f32_f64_e32 v1, v[2:3]
	global_store_dwordx2 v[4:5], v[0:1], off
	global_load_dwordx2 v[8:9], v[6:7], off offset:208
	v_add_u32_e32 v0, 0x2000, v244
	ds_read2_b64 v[0:3], v0 offset0:26 offset1:96
	v_mad_u64_u32 v[4:5], s[4:5], s8, v12, v[4:5]
	v_add_u32_e32 v5, s2, v5
	s_waitcnt vmcnt(0) lgkmcnt(0)
	v_mul_f32_e32 v10, v1, v9
	v_mul_f32_e32 v9, v0, v9
	v_fmac_f32_e32 v10, v0, v8
	v_fma_f32 v8, v8, v1, -v9
	v_cvt_f64_f32_e32 v[0:1], v10
	v_cvt_f64_f32_e32 v[8:9], v8
	v_mul_f64 v[0:1], v[0:1], s[0:1]
	v_mul_f64 v[8:9], v[8:9], s[0:1]
	v_cvt_f32_f64_e32 v0, v[0:1]
	v_cvt_f32_f64_e32 v1, v[8:9]
	global_store_dwordx2 v[4:5], v[0:1], off
	global_load_dwordx2 v[0:1], v[6:7], off offset:768
	v_mad_u64_u32 v[4:5], s[4:5], s8, v12, v[4:5]
	v_add_u32_e32 v5, s2, v5
	s_waitcnt vmcnt(0)
	v_mul_f32_e32 v6, v3, v1
	v_mul_f32_e32 v1, v2, v1
	v_fmac_f32_e32 v6, v2, v0
	v_fma_f32 v2, v0, v3, -v1
	v_cvt_f64_f32_e32 v[0:1], v6
	v_cvt_f64_f32_e32 v[2:3], v2
	v_mul_f64 v[0:1], v[0:1], s[0:1]
	v_mul_f64 v[2:3], v[2:3], s[0:1]
	v_cvt_f32_f64_e32 v0, v[0:1]
	v_cvt_f32_f64_e32 v1, v[2:3]
	global_store_dwordx2 v[4:5], v[0:1], off
.LBB0_23:
	s_endpgm
	.section	.rodata,"a",@progbits
	.p2align	6, 0x0
	.amdhsa_kernel bluestein_single_back_len1190_dim1_sp_op_CI_CI
		.amdhsa_group_segment_fixed_size 28560
		.amdhsa_private_segment_fixed_size 0
		.amdhsa_kernarg_size 104
		.amdhsa_user_sgpr_count 2
		.amdhsa_user_sgpr_dispatch_ptr 0
		.amdhsa_user_sgpr_queue_ptr 0
		.amdhsa_user_sgpr_kernarg_segment_ptr 1
		.amdhsa_user_sgpr_dispatch_id 0
		.amdhsa_user_sgpr_kernarg_preload_length 0
		.amdhsa_user_sgpr_kernarg_preload_offset 0
		.amdhsa_user_sgpr_private_segment_size 0
		.amdhsa_uses_dynamic_stack 0
		.amdhsa_enable_private_segment 0
		.amdhsa_system_sgpr_workgroup_id_x 1
		.amdhsa_system_sgpr_workgroup_id_y 0
		.amdhsa_system_sgpr_workgroup_id_z 0
		.amdhsa_system_sgpr_workgroup_info 0
		.amdhsa_system_vgpr_workitem_id 0
		.amdhsa_next_free_vgpr 330
		.amdhsa_next_free_sgpr 76
		.amdhsa_accum_offset 256
		.amdhsa_reserve_vcc 1
		.amdhsa_float_round_mode_32 0
		.amdhsa_float_round_mode_16_64 0
		.amdhsa_float_denorm_mode_32 3
		.amdhsa_float_denorm_mode_16_64 3
		.amdhsa_dx10_clamp 1
		.amdhsa_ieee_mode 1
		.amdhsa_fp16_overflow 0
		.amdhsa_tg_split 0
		.amdhsa_exception_fp_ieee_invalid_op 0
		.amdhsa_exception_fp_denorm_src 0
		.amdhsa_exception_fp_ieee_div_zero 0
		.amdhsa_exception_fp_ieee_overflow 0
		.amdhsa_exception_fp_ieee_underflow 0
		.amdhsa_exception_fp_ieee_inexact 0
		.amdhsa_exception_int_div_zero 0
	.end_amdhsa_kernel
	.text
.Lfunc_end0:
	.size	bluestein_single_back_len1190_dim1_sp_op_CI_CI, .Lfunc_end0-bluestein_single_back_len1190_dim1_sp_op_CI_CI
                                        ; -- End function
	.section	.AMDGPU.csdata,"",@progbits
; Kernel info:
; codeLenInByte = 21552
; NumSgprs: 82
; NumVgprs: 256
; NumAgprs: 74
; TotalNumVgprs: 330
; ScratchSize: 0
; MemoryBound: 0
; FloatMode: 240
; IeeeMode: 1
; LDSByteSize: 28560 bytes/workgroup (compile time only)
; SGPRBlocks: 10
; VGPRBlocks: 41
; NumSGPRsForWavesPerEU: 82
; NumVGPRsForWavesPerEU: 330
; AccumOffset: 256
; Occupancy: 1
; WaveLimiterHint : 1
; COMPUTE_PGM_RSRC2:SCRATCH_EN: 0
; COMPUTE_PGM_RSRC2:USER_SGPR: 2
; COMPUTE_PGM_RSRC2:TRAP_HANDLER: 0
; COMPUTE_PGM_RSRC2:TGID_X_EN: 1
; COMPUTE_PGM_RSRC2:TGID_Y_EN: 0
; COMPUTE_PGM_RSRC2:TGID_Z_EN: 0
; COMPUTE_PGM_RSRC2:TIDIG_COMP_CNT: 0
; COMPUTE_PGM_RSRC3_GFX90A:ACCUM_OFFSET: 63
; COMPUTE_PGM_RSRC3_GFX90A:TG_SPLIT: 0
	.text
	.p2alignl 6, 3212836864
	.fill 256, 4, 3212836864
	.type	__hip_cuid_1362d9234aad51d5,@object ; @__hip_cuid_1362d9234aad51d5
	.section	.bss,"aw",@nobits
	.globl	__hip_cuid_1362d9234aad51d5
__hip_cuid_1362d9234aad51d5:
	.byte	0                               ; 0x0
	.size	__hip_cuid_1362d9234aad51d5, 1

	.ident	"AMD clang version 19.0.0git (https://github.com/RadeonOpenCompute/llvm-project roc-6.4.0 25133 c7fe45cf4b819c5991fe208aaa96edf142730f1d)"
	.section	".note.GNU-stack","",@progbits
	.addrsig
	.addrsig_sym __hip_cuid_1362d9234aad51d5
	.amdgpu_metadata
---
amdhsa.kernels:
  - .agpr_count:     74
    .args:
      - .actual_access:  read_only
        .address_space:  global
        .offset:         0
        .size:           8
        .value_kind:     global_buffer
      - .actual_access:  read_only
        .address_space:  global
        .offset:         8
        .size:           8
        .value_kind:     global_buffer
      - .actual_access:  read_only
        .address_space:  global
        .offset:         16
        .size:           8
        .value_kind:     global_buffer
      - .actual_access:  read_only
        .address_space:  global
        .offset:         24
        .size:           8
        .value_kind:     global_buffer
      - .actual_access:  read_only
        .address_space:  global
        .offset:         32
        .size:           8
        .value_kind:     global_buffer
      - .offset:         40
        .size:           8
        .value_kind:     by_value
      - .address_space:  global
        .offset:         48
        .size:           8
        .value_kind:     global_buffer
      - .address_space:  global
        .offset:         56
        .size:           8
        .value_kind:     global_buffer
      - .address_space:  global
        .offset:         64
        .size:           8
        .value_kind:     global_buffer
      - .address_space:  global
        .offset:         72
        .size:           8
        .value_kind:     global_buffer
      - .offset:         80
        .size:           4
        .value_kind:     by_value
      - .address_space:  global
        .offset:         88
        .size:           8
        .value_kind:     global_buffer
      - .address_space:  global
        .offset:         96
        .size:           8
        .value_kind:     global_buffer
    .group_segment_fixed_size: 28560
    .kernarg_segment_align: 8
    .kernarg_segment_size: 104
    .language:       OpenCL C
    .language_version:
      - 2
      - 0
    .max_flat_workgroup_size: 255
    .name:           bluestein_single_back_len1190_dim1_sp_op_CI_CI
    .private_segment_fixed_size: 0
    .sgpr_count:     82
    .sgpr_spill_count: 0
    .symbol:         bluestein_single_back_len1190_dim1_sp_op_CI_CI.kd
    .uniform_work_group_size: 1
    .uses_dynamic_stack: false
    .vgpr_count:     330
    .vgpr_spill_count: 0
    .wavefront_size: 64
amdhsa.target:   amdgcn-amd-amdhsa--gfx950
amdhsa.version:
  - 1
  - 2
...

	.end_amdgpu_metadata
